;; amdgpu-corpus repo=ROCm/rocFFT kind=compiled arch=gfx950 opt=O3
	.text
	.amdgcn_target "amdgcn-amd-amdhsa--gfx950"
	.amdhsa_code_object_version 6
	.protected	bluestein_single_back_len340_dim1_sp_op_CI_CI ; -- Begin function bluestein_single_back_len340_dim1_sp_op_CI_CI
	.globl	bluestein_single_back_len340_dim1_sp_op_CI_CI
	.p2align	8
	.type	bluestein_single_back_len340_dim1_sp_op_CI_CI,@function
bluestein_single_back_len340_dim1_sp_op_CI_CI: ; @bluestein_single_back_len340_dim1_sp_op_CI_CI
; %bb.0:
	s_load_dwordx4 s[8:11], s[0:1], 0x28
	v_mul_u32_u24_e32 v1, 0x788, v0
	v_lshrrev_b32_e32 v2, 16, v1
	v_mad_u64_u32 v[4:5], s[2:3], s2, 3, v[2:3]
	v_mov_b32_e32 v227, 0
	v_mov_b32_e32 v5, v227
	s_waitcnt lgkmcnt(0)
	v_cmp_gt_u64_e32 vcc, s[8:9], v[4:5]
	s_and_saveexec_b64 s[2:3], vcc
	s_cbranch_execz .LBB0_15
; %bb.1:
	v_mul_lo_u16_e32 v1, 34, v2
	s_mov_b32 s4, 0xaaaaaaab
	v_sub_u16_e32 v226, v0, v1
	v_mul_hi_u32 v0, v4, s4
	v_lshrrev_b32_e32 v0, 1, v0
	s_load_dwordx2 s[2:3], s[0:1], 0x0
	s_load_dwordx2 s[8:9], s[0:1], 0x38
	v_lshl_add_u32 v0, v0, 1, v0
	v_sub_u32_e32 v0, v4, v0
	v_mul_u32_u24_e32 v41, 0x154, v0
	v_lshlrev_b32_e32 v0, 3, v226
	v_accvgpr_write_b32 a0, v0
	v_lshlrev_b32_e32 v0, 3, v41
	v_accvgpr_write_b32 a2, v4
	v_cmp_gt_u16_e32 vcc, 20, v226
	v_accvgpr_write_b32 a1, v0
	s_and_saveexec_b64 s[12:13], vcc
	s_cbranch_execz .LBB0_3
; %bb.2:
	s_load_dwordx2 s[4:5], s[0:1], 0x18
	v_accvgpr_read_b32 v10, a2
	v_mov_b32_e32 v0, s10
	v_mov_b32_e32 v1, s11
	;; [unrolled: 1-line block ×3, first 2 shown]
	s_waitcnt lgkmcnt(0)
	s_load_dwordx4 s[4:7], s[4:5], 0x0
	v_accvgpr_read_b32 v42, a0
	v_mov_b32_e32 v37, 0x140
	v_mov_b32_e32 v43, v41
	v_or_b32_e32 v41, 0x140, v226
	s_waitcnt lgkmcnt(0)
	v_mad_u64_u32 v[2:3], s[10:11], s6, v10, 0
	v_mad_u64_u32 v[4:5], s[10:11], s4, v226, 0
	v_mov_b32_e32 v6, v3
	v_mov_b32_e32 v8, v5
	v_mad_u64_u32 v[6:7], s[6:7], s7, v10, v[6:7]
	v_mov_b32_e32 v3, v6
	v_mad_u64_u32 v[6:7], s[6:7], s5, v226, v[8:9]
	v_mov_b32_e32 v5, v6
	v_lshl_add_u64 v[2:3], v[2:3], 3, v[0:1]
	v_lshl_add_u64 v[4:5], v[4:5], 3, v[2:3]
	v_mad_u64_u32 v[26:27], s[6:7], s4, v40, v[4:5]
	s_mul_i32 s6, s5, 0xa0
	s_nop 0
	v_add_u32_e32 v27, s6, v27
	v_mad_u64_u32 v[28:29], s[10:11], s4, v40, v[26:27]
	v_add_u32_e32 v29, s6, v29
	v_mad_u64_u32 v[30:31], s[10:11], s4, v40, v[28:29]
	;; [unrolled: 2-line block ×3, first 2 shown]
	global_load_dwordx2 v[0:1], v[4:5], off
	global_load_dwordx2 v[10:11], v42, s[2:3]
	global_load_dwordx2 v[8:9], v42, s[2:3] offset:160
	global_load_dwordx2 v[6:7], v42, s[2:3] offset:320
	s_nop 0
	global_load_dwordx2 v[4:5], v42, s[2:3] offset:480
	v_add_u32_e32 v33, s6, v33
	global_load_dwordx2 v[20:21], v[26:27], off
	global_load_dwordx2 v[18:19], v[28:29], off
	;; [unrolled: 1-line block ×4, first 2 shown]
	global_load_dwordx2 v[16:17], v42, s[2:3] offset:640
	global_load_dwordx2 v[22:23], v42, s[2:3] offset:800
	;; [unrolled: 1-line block ×4, first 2 shown]
	v_or_b32_e32 v31, 0xa0, v226
	v_mad_u64_u32 v[26:27], s[10:11], s4, v31, 0
	v_mov_b32_e32 v30, v27
	v_mad_u64_u32 v[30:31], s[10:11], s5, v31, v[30:31]
	v_mov_b32_e32 v27, v30
	v_mad_u64_u32 v[30:31], s[10:11], s4, v40, v[32:33]
	v_add_u32_e32 v31, s6, v31
	global_load_dwordx2 v[32:33], v[30:31], off
	v_mad_u64_u32 v[30:31], s[10:11], s4, v40, v[30:31]
	v_add_u32_e32 v31, s6, v31
	global_load_dwordx2 v[38:39], v[30:31], off
	v_mad_u64_u32 v[30:31], s[10:11], s4, v40, v[30:31]
	v_add_u32_e32 v31, s6, v31
	s_mul_i32 s7, s5, 0x140
	global_load_dwordx2 v[44:45], v[30:31], off
	v_mad_u64_u32 v[30:31], s[10:11], s4, v37, v[30:31]
	v_lshl_add_u64 v[26:27], v[26:27], 3, v[2:3]
	v_add_u32_e32 v31, s7, v31
	global_load_dwordx2 v[26:27], v[26:27], off
	s_nop 0
	global_load_dwordx2 v[46:47], v[30:31], off
	global_load_dwordx2 v[48:49], v42, s[2:3] offset:1280
	v_mad_u64_u32 v[30:31], s[10:11], s4, v40, v[30:31]
	v_add_u32_e32 v31, s6, v31
	global_load_dwordx2 v[50:51], v[30:31], off
	global_load_dwordx2 v[52:53], v42, s[2:3] offset:1440
	v_mad_u64_u32 v[30:31], s[10:11], s4, v40, v[30:31]
	v_add_u32_e32 v31, s6, v31
	global_load_dwordx2 v[54:55], v42, s[2:3] offset:1600
	global_load_dwordx2 v[56:57], v[30:31], off
	global_load_dwordx2 v[58:59], v42, s[2:3] offset:1760
	v_mad_u64_u32 v[30:31], s[10:11], s4, v40, v[30:31]
	v_add_u32_e32 v31, s6, v31
	global_load_dwordx2 v[60:61], v[30:31], off
	v_mad_u64_u32 v[30:31], s[10:11], s4, v40, v[30:31]
	v_mad_u64_u32 v[28:29], s[10:11], s4, v41, 0
	v_add_u32_e32 v31, s6, v31
	v_mov_b32_e32 v36, v29
	global_load_dwordx2 v[62:63], v42, s[2:3] offset:1920
	global_load_dwordx2 v[66:67], v42, s[2:3] offset:2080
	global_load_dwordx2 v[64:65], v[30:31], off
	v_mad_u64_u32 v[30:31], s[10:11], s4, v40, v[30:31]
	v_add_u32_e32 v31, s6, v31
	v_mad_u64_u32 v[36:37], s[10:11], s5, v41, v[36:37]
	global_load_dwordx2 v[68:69], v[30:31], off
	global_load_dwordx2 v[70:71], v42, s[2:3] offset:2240
	v_mad_u64_u32 v[30:31], s[4:5], s4, v40, v[30:31]
	v_mov_b32_e32 v29, v36
	v_add_u32_e32 v31, s6, v31
	v_lshl_add_u64 v[2:3], v[28:29], 3, v[2:3]
	global_load_dwordx2 v[72:73], v[30:31], off
	global_load_dwordx2 v[74:75], v42, s[2:3] offset:2400
	global_load_dwordx2 v[28:29], v[2:3], off
	s_nop 0
	global_load_dwordx2 v[30:31], v42, s[2:3] offset:2560
	v_accvgpr_read_b32 v2, a1
	v_lshl_add_u32 v36, v226, 3, v2
	v_add_u32_e32 v37, v2, v42
	v_mov_b32_e32 v41, v43
	s_waitcnt vmcnt(32)
	v_mul_f32_e32 v2, v1, v11
	v_mul_f32_e32 v3, v0, v11
	v_fmac_f32_e32 v2, v0, v10
	v_fma_f32 v3, v1, v10, -v3
	ds_write_b64 v36, v[2:3]
	s_waitcnt vmcnt(28)
	v_mul_f32_e32 v0, v21, v9
	v_mul_f32_e32 v1, v20, v9
	s_waitcnt vmcnt(27)
	v_mul_f32_e32 v2, v19, v7
	v_mul_f32_e32 v3, v18, v7
	v_fmac_f32_e32 v0, v20, v8
	v_fma_f32 v1, v21, v8, -v1
	v_fmac_f32_e32 v2, v18, v6
	v_fma_f32 v3, v19, v6, -v3
	ds_write2_b64 v37, v[0:1], v[2:3] offset0:20 offset1:40
	s_waitcnt vmcnt(26)
	v_mul_f32_e32 v0, v15, v5
	v_mul_f32_e32 v1, v14, v5
	s_waitcnt vmcnt(24)
	v_mul_f32_e32 v2, v13, v17
	v_mul_f32_e32 v3, v12, v17
	v_fmac_f32_e32 v0, v14, v4
	v_fma_f32 v1, v15, v4, -v1
	v_fma_f32 v3, v13, v16, -v3
	v_fmac_f32_e32 v2, v12, v16
	ds_write2_b64 v37, v[0:1], v[2:3] offset0:60 offset1:80
	s_waitcnt vmcnt(20)
	v_mul_f32_e32 v0, v33, v23
	v_mul_f32_e32 v1, v32, v23
	s_waitcnt vmcnt(19)
	v_mul_f32_e32 v2, v39, v25
	v_mul_f32_e32 v3, v38, v25
	v_fmac_f32_e32 v0, v32, v22
	v_fma_f32 v1, v33, v22, -v1
	v_fmac_f32_e32 v2, v38, v24
	v_fma_f32 v3, v39, v24, -v3
	ds_write2_b64 v37, v[0:1], v[2:3] offset0:100 offset1:120
	s_waitcnt vmcnt(18)
	v_mul_f32_e32 v0, v45, v35
	v_mul_f32_e32 v1, v44, v35
	s_waitcnt vmcnt(15)
	v_mul_f32_e32 v2, v27, v49
	v_mul_f32_e32 v3, v26, v49
	v_fmac_f32_e32 v0, v44, v34
	v_fma_f32 v1, v45, v34, -v1
	v_fmac_f32_e32 v2, v26, v48
	v_fma_f32 v3, v27, v48, -v3
	;; [unrolled: 11-line block ×5, first 2 shown]
	v_add_u32_e32 v4, 0x800, v37
	ds_write2_b64 v4, v[0:1], v[2:3] offset0:4 offset1:24
	s_waitcnt vmcnt(2)
	v_mul_f32_e32 v0, v73, v75
	v_mul_f32_e32 v1, v72, v75
	s_waitcnt vmcnt(0)
	v_mul_f32_e32 v2, v29, v31
	v_mul_f32_e32 v3, v28, v31
	v_fmac_f32_e32 v0, v72, v74
	v_fma_f32 v1, v73, v74, -v1
	v_fmac_f32_e32 v2, v28, v30
	v_fma_f32 v3, v29, v30, -v3
	ds_write2_b64 v4, v[0:1], v[2:3] offset0:44 offset1:64
.LBB0_3:
	s_or_b64 exec, exec, s[12:13]
	s_load_dwordx2 s[4:5], s[0:1], 0x20
	s_load_dwordx2 s[10:11], s[0:1], 0x8
	v_mov_b32_e32 v0, 0
	v_mov_b32_e32 v1, 0
	s_waitcnt lgkmcnt(0)
	s_barrier
	s_waitcnt lgkmcnt(0)
                                        ; implicit-def: $vgpr6
                                        ; implicit-def: $vgpr12
                                        ; implicit-def: $vgpr10
                                        ; implicit-def: $vgpr24
                                        ; implicit-def: $vgpr22
                                        ; implicit-def: $vgpr44
                                        ; implicit-def: $vgpr30
                                        ; implicit-def: $vgpr34
	s_and_saveexec_b64 s[0:1], vcc
	s_cbranch_execz .LBB0_5
; %bb.4:
	v_accvgpr_read_b32 v0, a0
	v_lshl_add_u32 v16, v41, 3, v0
	ds_read2_b64 v[0:3], v16 offset1:20
	ds_read2_b64 v[32:35], v16 offset0:40 offset1:60
	ds_read2_b64 v[20:23], v16 offset0:80 offset1:100
	;; [unrolled: 1-line block ×5, first 2 shown]
	v_add_u32_e32 v17, 0x400, v16
	ds_read2_b64 v[24:27], v17 offset0:112 offset1:132
	v_add_u32_e32 v17, 0x800, v16
	ds_read2_b64 v[28:31], v17 offset0:24 offset1:44
	ds_read_b64 v[44:45], v16 offset:2560
.LBB0_5:
	s_or_b64 exec, exec, s[0:1]
	s_mov_b32 s12, 0xbeb8f4ab
	s_waitcnt lgkmcnt(0)
	v_pk_add_f32 v[48:49], v[44:45], v[2:3]
	v_pk_add_f32 v[16:17], v[2:3], v[44:45] neg_lo:[0,1] neg_hi:[0,1]
	s_mov_b32 s13, 0x3f6eb680
	v_mov_b32_e32 v37, v49
	v_mov_b32_e32 v49, v16
	s_mov_b32 s0, s13
	s_mov_b32 s1, s12
	v_mov_b32_e32 v36, v17
	v_pk_mul_f32 v[16:17], v[48:49], s[0:1]
	s_mov_b32 s0, 0xbf2c7751
	v_accvgpr_write_b32 a16, v16
	s_mov_b32 s1, 0x3f3d2fb0
	v_pk_fma_f32 v[18:19], v[36:37], s[12:13], v[16:17]
	v_accvgpr_write_b32 a17, v17
	v_pk_fma_f32 v[16:17], v[36:37], s[12:13], v[16:17] neg_lo:[0,0,1] neg_hi:[0,0,1]
	v_pk_add_f32 v[50:51], v[32:33], v[30:31] neg_lo:[0,1] neg_hi:[0,1]
	s_mov_b32 s6, s1
	s_mov_b32 s7, s0
	v_pk_add_f32 v[86:87], v[30:31], v[32:33]
	v_pk_mul_f32 v[38:39], v[48:49], s[6:7]
	s_mov_b32 s40, s1
	v_accvgpr_write_b32 a3, v19
	v_mov_b32_e32 v16, v18
	v_pk_mul_f32 v[18:19], v[50:51], s[0:1] op_sel:[1,0] op_sel_hi:[0,0]
	s_mov_b32 s6, 0xbf7ee86f
	v_pk_fma_f32 v[46:47], v[86:87], s[40:41], v[18:19] op_sel_hi:[1,0,1]
	v_pk_fma_f32 v[78:79], v[86:87], s[40:41], v[18:19] op_sel_hi:[1,0,1] neg_lo:[0,0,1] neg_hi:[0,0,1]
	s_mov_b32 s7, 0x3dbcf732
	v_pk_add_f32 v[16:17], v[16:17], v[0:1]
	v_accvgpr_write_b32 a21, v47
	v_mov_b32_e32 v18, v46
	v_mov_b32_e32 v19, v79
	;; [unrolled: 1-line block ×4, first 2 shown]
	s_mov_b32 s20, s7
	s_mov_b32 s21, s6
	;; [unrolled: 1-line block ×3, first 2 shown]
	v_pk_fma_f32 v[42:43], v[36:37], s[0:1], v[38:39]
	v_pk_add_f32 v[16:17], v[18:19], v[16:17]
	v_mov_b32_e32 v46, v51
	v_accvgpr_write_b32 a18, v38
	v_pk_fma_f32 v[18:19], v[36:37], s[0:1], v[38:39] neg_lo:[0,0,1] neg_hi:[0,0,1]
	v_pk_mul_f32 v[92:93], v[86:87], s[20:21]
	s_mov_b32 s17, 0x3ee437d1
	s_mov_b32 s18, 0xbf4c4adb
	v_accvgpr_write_b32 a19, v39
	v_mov_b32_e32 v79, v43
	v_mov_b32_e32 v18, v42
	v_pk_fma_f32 v[42:43], v[46:47], s[6:7], v[92:93]
	v_pk_fma_f32 v[38:39], v[46:47], s[6:7], v[92:93] neg_lo:[0,0,1] neg_hi:[0,0,1]
	s_mov_b32 s14, s17
	s_mov_b32 s15, s16
	;; [unrolled: 1-line block ×3, first 2 shown]
	v_pk_add_f32 v[18:19], v[18:19], v[0:1]
	v_mov_b32_e32 v38, v42
	s_mov_b32 s28, s19
	s_mov_b32 s29, s18
	v_pk_mul_f32 v[106:107], v[48:49], s[14:15]
	v_accvgpr_write_b32 a25, v43
	v_pk_add_f32 v[18:19], v[38:39], v[18:19]
	v_pk_fma_f32 v[42:43], v[36:37], s[16:17], v[106:107]
	v_pk_fma_f32 v[38:39], v[36:37], s[16:17], v[106:107] neg_lo:[0,0,1] neg_hi:[0,0,1]
	v_pk_mul_f32 v[112:113], v[86:87], s[28:29]
	v_accvgpr_write_b32 a29, v43
	v_mov_b32_e32 v38, v42
	v_pk_fma_f32 v[42:43], v[46:47], s[18:19], v[112:113]
	v_pk_fma_f32 v[52:53], v[46:47], s[18:19], v[112:113] neg_lo:[0,0,1] neg_hi:[0,0,1]
	v_pk_add_f32 v[38:39], v[38:39], v[0:1]
	v_mov_b32_e32 v52, v42
	s_mov_b32 s14, 0x3e3c28d5
	v_pk_add_f32 v[70:71], v[34:35], v[28:29] neg_lo:[0,1] neg_hi:[0,1]
	v_pk_add_f32 v[38:39], v[52:53], v[38:39]
	s_mov_b32 s36, 0xbf7ba420
	v_pk_add_f32 v[68:69], v[28:29], v[34:35]
	v_pk_mul_f32 v[52:53], v[70:71], s[14:15] op_sel_hi:[1,0]
	s_mov_b32 s14, 0xbe3c28d5
	v_pk_fma_f32 v[56:57], v[68:69], s[36:37], v[52:53] op_sel:[0,0,1] op_sel_hi:[1,0,0]
	v_pk_fma_f32 v[74:75], v[68:69], s[36:37], v[52:53] op_sel:[0,0,1] op_sel_hi:[1,0,0] neg_lo:[0,0,1] neg_hi:[0,0,1]
	s_mov_b32 s37, s14
	v_pk_mul_f32 v[126:127], v[48:49], s[20:21]
	v_accvgpr_write_b32 a31, v43
	s_mov_b32 s15, s36
	v_pk_fma_f32 v[42:43], v[36:37], s[6:7], v[126:127]
	v_pk_fma_f32 v[52:53], v[36:37], s[6:7], v[126:127] neg_lo:[0,0,1] neg_hi:[0,0,1]
	v_pk_mul_f32 v[130:131], v[86:87], s[36:37]
	v_accvgpr_write_b32 a37, v43
	v_mov_b32_e32 v52, v42
	v_pk_fma_f32 v[42:43], v[46:47], s[14:15], v[130:131]
	v_pk_fma_f32 v[54:55], v[46:47], s[14:15], v[130:131] neg_lo:[0,0,1] neg_hi:[0,0,1]
	v_pk_add_f32 v[52:53], v[52:53], v[0:1]
	v_mov_b32_e32 v54, v42
	v_pk_add_f32 v[52:53], v[54:55], v[52:53]
	s_mov_b32 s42, s17
	v_pk_mul_f32 v[54:55], v[70:71], s[16:17] op_sel_hi:[1,0]
	v_accvgpr_write_b32 a39, v43
	v_pk_fma_f32 v[42:43], v[68:69], s[42:43], v[54:55] op_sel:[0,0,1] op_sel_hi:[1,0,0]
	v_pk_fma_f32 v[100:101], v[68:69], s[42:43], v[54:55] op_sel:[0,0,1] op_sel_hi:[1,0,0] neg_lo:[0,0,1] neg_hi:[0,0,1]
	v_mov_b32_e32 v54, v42
	v_mov_b32_e32 v55, v101
	v_pk_add_f32 v[16:17], v[54:55], v[16:17]
	s_mov_b32 s46, s19
	v_pk_mul_f32 v[54:55], v[70:71], s[18:19] op_sel_hi:[1,0]
	v_accvgpr_write_b32 a27, v43
	v_pk_fma_f32 v[42:43], v[68:69], s[46:47], v[54:55] op_sel:[0,0,1] op_sel_hi:[1,0,0]
	v_pk_fma_f32 v[90:91], v[68:69], s[46:47], v[54:55] op_sel:[0,0,1] op_sel_hi:[1,0,0] neg_lo:[0,0,1] neg_hi:[0,0,1]
	v_mov_b32_e32 v54, v42
	v_mov_b32_e32 v55, v91
	s_mov_b32 s20, 0xbf763a35
	v_pk_add_f32 v[18:19], v[54:55], v[18:19]
	v_mov_b32_e32 v54, v56
	v_mov_b32_e32 v55, v75
	s_mov_b32 s21, 0xbe8c1d8e
	s_mov_b32 s38, 0x3f763a35
	v_pk_add_f32 v[38:39], v[54:55], v[38:39]
	s_mov_b32 s44, s21
	v_pk_mul_f32 v[54:55], v[70:71], s[38:39] op_sel_hi:[1,0]
	s_mov_b32 s24, 0x3f06c442
	v_accvgpr_write_b32 a23, v43
	v_pk_fma_f32 v[42:43], v[68:69], s[44:45], v[54:55] op_sel:[0,0,1] op_sel_hi:[1,0,0]
	v_pk_fma_f32 v[80:81], v[68:69], s[44:45], v[54:55] op_sel:[0,0,1] op_sel_hi:[1,0,0] neg_lo:[0,0,1] neg_hi:[0,0,1]
	s_mov_b32 s22, s21
	s_mov_b32 s23, s20
	;; [unrolled: 1-line block ×3, first 2 shown]
	v_mov_b32_e32 v54, v42
	v_mov_b32_e32 v55, v81
	s_mov_b32 s26, s25
	s_mov_b32 s27, s24
	v_pk_mul_f32 v[158:159], v[48:49], s[22:23]
	v_mov_b32_e32 v75, v43
	v_pk_add_f32 v[52:53], v[54:55], v[52:53]
	v_pk_fma_f32 v[42:43], v[36:37], s[20:21], v[158:159]
	v_pk_fma_f32 v[54:55], v[36:37], s[20:21], v[158:159] neg_lo:[0,0,1] neg_hi:[0,0,1]
	v_pk_mul_f32 v[166:167], v[86:87], s[26:27]
	v_mov_b32_e32 v91, v57
	v_mov_b32_e32 v81, v43
	;; [unrolled: 1-line block ×3, first 2 shown]
	v_pk_fma_f32 v[42:43], v[46:47], s[24:25], v[166:167]
	v_pk_fma_f32 v[56:57], v[46:47], s[24:25], v[166:167] neg_lo:[0,0,1] neg_hi:[0,0,1]
	v_pk_add_f32 v[54:55], v[54:55], v[0:1]
	v_mov_b32_e32 v56, v42
	s_mov_b32 s26, 0x3f2c7751
	v_pk_add_f32 v[54:55], v[56:57], v[54:55]
	v_pk_mul_f32 v[56:57], v[70:71], s[26:27] op_sel_hi:[1,0]
	v_mov_b32_e32 v101, v43
	v_pk_fma_f32 v[42:43], v[68:69], s[40:41], v[56:57] op_sel:[0,0,1] op_sel_hi:[1,0,0]
	v_pk_fma_f32 v[84:85], v[68:69], s[40:41], v[56:57] op_sel:[0,0,1] op_sel_hi:[1,0,0] neg_lo:[0,0,1] neg_hi:[0,0,1]
	v_mov_b32_e32 v56, v42
	v_mov_b32_e32 v57, v85
	v_pk_add_f32 v[190:191], v[20:21], v[26:27] neg_lo:[0,1] neg_hi:[0,1]
	v_pk_add_f32 v[54:55], v[56:57], v[54:55]
	s_mov_b32 s50, s7
	v_pk_add_f32 v[72:73], v[26:27], v[20:21]
	v_pk_mul_f32 v[56:57], v[190:191], s[6:7] op_sel:[1,0] op_sel_hi:[0,0]
	v_accvgpr_write_b32 a47, v43
	v_pk_fma_f32 v[42:43], v[72:73], s[50:51], v[56:57] op_sel_hi:[1,0,1]
	v_pk_fma_f32 v[140:141], v[72:73], s[50:51], v[56:57] op_sel_hi:[1,0,1] neg_lo:[0,0,1] neg_hi:[0,0,1]
	v_mov_b32_e32 v56, v42
	v_mov_b32_e32 v57, v141
	v_pk_add_f32 v[16:17], v[56:57], v[16:17]
	v_pk_mul_f32 v[56:57], v[190:191], s[14:15] op_sel:[1,0] op_sel_hi:[0,0]
	v_accvgpr_write_b32 a41, v43
	v_pk_fma_f32 v[42:43], v[72:73], s[36:37], v[56:57] op_sel_hi:[1,0,1]
	v_pk_fma_f32 v[124:125], v[72:73], s[36:37], v[56:57] op_sel_hi:[1,0,1] neg_lo:[0,0,1] neg_hi:[0,0,1]
	v_mov_b32_e32 v56, v42
	v_mov_b32_e32 v57, v125
	s_mov_b32 s39, s21
	v_pk_add_f32 v[18:19], v[56:57], v[18:19]
	v_pk_mul_f32 v[56:57], v[190:191], s[38:39] op_sel:[1,0] op_sel_hi:[0,0]
	v_accvgpr_write_b32 a35, v43
	v_pk_fma_f32 v[42:43], v[72:73], s[44:45], v[56:57] op_sel_hi:[1,0,1]
	v_pk_fma_f32 v[120:121], v[72:73], s[44:45], v[56:57] op_sel_hi:[1,0,1] neg_lo:[0,0,1] neg_hi:[0,0,1]
	v_mov_b32_e32 v56, v42
	v_mov_b32_e32 v57, v121
	s_mov_b32 s22, 0x3eb8f4ab
	v_pk_add_f32 v[38:39], v[56:57], v[38:39]
	s_mov_b32 s48, s13
	v_pk_mul_f32 v[56:57], v[190:191], s[22:23] op_sel:[1,0] op_sel_hi:[0,0]
	v_pk_fma_f32 v[178:179], v[72:73], s[48:49], v[56:57] op_sel_hi:[1,0,1]
	v_pk_fma_f32 v[104:105], v[72:73], s[48:49], v[56:57] op_sel_hi:[1,0,1] neg_lo:[0,0,1] neg_hi:[0,0,1]
	v_mov_b32_e32 v56, v178
	v_mov_b32_e32 v57, v105
	v_pk_add_f32 v[52:53], v[56:57], v[52:53]
	v_pk_mul_f32 v[56:57], v[190:191], s[16:17] op_sel:[1,0] op_sel_hi:[0,0]
	v_pk_fma_f32 v[188:189], v[72:73], s[42:43], v[56:57] op_sel_hi:[1,0,1]
	v_pk_fma_f32 v[96:97], v[72:73], s[42:43], v[56:57] op_sel_hi:[1,0,1] neg_lo:[0,0,1] neg_hi:[0,0,1]
	v_mov_b32_e32 v56, v188
	v_mov_b32_e32 v57, v97
	s_mov_b32 s30, s21
	s_mov_b32 s31, s38
	v_pk_mul_f32 v[200:201], v[48:49], s[28:29]
	v_pk_add_f32 v[54:55], v[56:57], v[54:55]
	v_pk_fma_f32 v[202:203], v[36:37], s[18:19], v[200:201]
	v_pk_fma_f32 v[56:57], v[36:37], s[18:19], v[200:201] neg_lo:[0,0,1] neg_hi:[0,0,1]
	v_pk_mul_f32 v[204:205], v[86:87], s[30:31]
	v_mov_b32_e32 v56, v202
	v_pk_fma_f32 v[206:207], v[46:47], s[38:39], v[204:205]
	v_pk_fma_f32 v[58:59], v[46:47], s[38:39], v[204:205] neg_lo:[0,0,1] neg_hi:[0,0,1]
	v_pk_add_f32 v[56:57], v[56:57], v[0:1]
	v_mov_b32_e32 v58, v206
	v_pk_add_f32 v[56:57], v[58:59], v[56:57]
	v_pk_mul_f32 v[58:59], v[70:71], s[12:13] op_sel_hi:[1,0]
	s_mov_b32 s28, 0xbf06c442
	v_pk_fma_f32 v[214:215], v[68:69], s[48:49], v[58:59] op_sel:[0,0,1] op_sel_hi:[1,0,0]
	v_pk_fma_f32 v[102:103], v[68:69], s[48:49], v[58:59] op_sel:[0,0,1] op_sel_hi:[1,0,0] neg_lo:[0,0,1] neg_hi:[0,0,1]
	v_mov_b32_e32 v58, v214
	v_mov_b32_e32 v59, v103
	v_pk_add_f32 v[56:57], v[58:59], v[56:57]
	s_mov_b32 s52, s25
	v_pk_mul_f32 v[58:59], v[190:191], s[28:29] op_sel:[1,0] op_sel_hi:[0,0]
	v_pk_fma_f32 v[220:221], v[72:73], s[52:53], v[58:59] op_sel_hi:[1,0,1]
	v_pk_fma_f32 v[110:111], v[72:73], s[52:53], v[58:59] op_sel_hi:[1,0,1] neg_lo:[0,0,1] neg_hi:[0,0,1]
	v_mov_b32_e32 v58, v220
	v_mov_b32_e32 v59, v111
	v_pk_add_f32 v[244:245], v[22:23], v[24:25] neg_lo:[0,1] neg_hi:[0,1]
	v_pk_add_f32 v[56:57], v[58:59], v[56:57]
	v_pk_add_f32 v[82:83], v[24:25], v[22:23]
	v_pk_mul_f32 v[58:59], v[244:245], s[20:21] op_sel:[1,0] op_sel_hi:[0,0]
	v_pk_fma_f32 v[180:181], v[82:83], s[44:45], v[58:59] op_sel_hi:[1,0,1]
	v_pk_fma_f32 v[182:183], v[82:83], s[44:45], v[58:59] op_sel_hi:[1,0,1] neg_lo:[0,0,1] neg_hi:[0,0,1]
	v_mov_b32_e32 v58, v180
	v_mov_b32_e32 v59, v183
	v_pk_add_f32 v[58:59], v[58:59], v[16:17]
	v_pk_mul_f32 v[16:17], v[244:245], s[24:25] op_sel:[1,0] op_sel_hi:[0,0]
	v_accvgpr_write_b32 a33, v43
	v_pk_fma_f32 v[42:43], v[82:83], s[52:53], v[16:17] op_sel_hi:[1,0,1]
	v_pk_fma_f32 v[174:175], v[82:83], s[52:53], v[16:17] op_sel_hi:[1,0,1] neg_lo:[0,0,1] neg_hi:[0,0,1]
	v_mov_b32_e32 v16, v42
	v_mov_b32_e32 v17, v175
	v_pk_add_f32 v[18:19], v[16:17], v[18:19]
	v_pk_mul_f32 v[16:17], v[244:245], s[26:27] op_sel:[1,0] op_sel_hi:[0,0]
	v_mov_b32_e32 v121, v43
	v_pk_fma_f32 v[42:43], v[82:83], s[40:41], v[16:17] op_sel_hi:[1,0,1]
	v_pk_fma_f32 v[164:165], v[82:83], s[40:41], v[16:17] op_sel_hi:[1,0,1] neg_lo:[0,0,1] neg_hi:[0,0,1]
	v_mov_b32_e32 v16, v42
	v_mov_b32_e32 v17, v165
	v_pk_add_f32 v[38:39], v[16:17], v[38:39]
	v_pk_mul_f32 v[16:17], v[244:245], s[16:17] op_sel:[1,0] op_sel_hi:[0,0]
	v_accvgpr_write_b32 a45, v43
	v_pk_fma_f32 v[42:43], v[82:83], s[42:43], v[16:17] op_sel_hi:[1,0,1]
	v_pk_fma_f32 v[148:149], v[82:83], s[42:43], v[16:17] op_sel_hi:[1,0,1] neg_lo:[0,0,1] neg_hi:[0,0,1]
	v_mov_b32_e32 v16, v42
	v_mov_b32_e32 v17, v149
	v_pk_add_f32 v[60:61], v[16:17], v[52:53]
	v_pk_mul_f32 v[16:17], v[244:245], s[14:15] op_sel:[1,0] op_sel_hi:[0,0]
	v_pk_fma_f32 v[234:235], v[82:83], s[36:37], v[16:17] op_sel_hi:[1,0,1]
	v_pk_fma_f32 v[142:143], v[82:83], s[36:37], v[16:17] op_sel_hi:[1,0,1] neg_lo:[0,0,1] neg_hi:[0,0,1]
	v_mov_b32_e32 v16, v234
	v_mov_b32_e32 v17, v143
	s_mov_b32 s30, 0x3f7ee86f
	v_pk_add_f32 v[54:55], v[16:17], v[54:55]
	v_pk_mul_f32 v[16:17], v[244:245], s[30:31] op_sel:[1,0] op_sel_hi:[0,0]
	v_pk_fma_f32 v[254:255], v[82:83], s[50:51], v[16:17] op_sel_hi:[1,0,1]
	v_pk_fma_f32 v[136:137], v[82:83], s[50:51], v[16:17] op_sel_hi:[1,0,1] neg_lo:[0,0,1] neg_hi:[0,0,1]
	s_mov_b32 s54, s25
	s_mov_b32 s55, s28
	;; [unrolled: 1-line block ×3, first 2 shown]
	v_mov_b32_e32 v16, v254
	v_mov_b32_e32 v17, v137
	s_mov_b32 s29, s25
	s_mov_b32 s56, s17
	;; [unrolled: 1-line block ×3, first 2 shown]
	v_pk_mul_f32 v[52:53], v[48:49], s[54:55]
	v_pk_add_f32 v[62:63], v[16:17], v[56:57]
	s_mov_b32 s35, s17
	v_pk_fma_f32 v[116:117], v[36:37], s[28:29], v[52:53]
	v_pk_fma_f32 v[16:17], v[36:37], s[28:29], v[52:53] neg_lo:[0,0,1] neg_hi:[0,0,1]
	v_pk_mul_f32 v[118:119], v[86:87], s[56:57]
	v_mov_b32_e32 v16, v116
	v_pk_fma_f32 v[64:65], v[46:47], s[34:35], v[118:119]
	v_pk_fma_f32 v[56:57], v[46:47], s[34:35], v[118:119] neg_lo:[0,0,1] neg_hi:[0,0,1]
	v_pk_add_f32 v[16:17], v[16:17], v[0:1]
	v_mov_b32_e32 v56, v64
	v_pk_add_f32 v[16:17], v[56:57], v[16:17]
	v_pk_mul_f32 v[56:57], v[70:71], s[6:7] op_sel_hi:[1,0]
	s_mov_b32 s54, 0x3f4c4adb
	v_pk_fma_f32 v[144:145], v[68:69], s[50:51], v[56:57] op_sel:[0,0,1] op_sel_hi:[1,0,0]
	v_pk_fma_f32 v[152:153], v[68:69], s[50:51], v[56:57] op_sel:[0,0,1] op_sel_hi:[1,0,0] neg_lo:[0,0,1] neg_hi:[0,0,1]
	v_mov_b32_e32 v56, v144
	v_mov_b32_e32 v57, v153
	v_pk_add_f32 v[16:17], v[56:57], v[16:17]
	v_pk_mul_f32 v[56:57], v[190:191], s[54:55] op_sel:[1,0] op_sel_hi:[0,0]
	v_pk_fma_f32 v[146:147], v[72:73], s[46:47], v[56:57] op_sel_hi:[1,0,1]
	v_pk_fma_f32 v[154:155], v[72:73], s[46:47], v[56:57] op_sel_hi:[1,0,1] neg_lo:[0,0,1] neg_hi:[0,0,1]
	v_mov_b32_e32 v56, v146
	v_mov_b32_e32 v57, v155
	v_pk_mul_f32 v[66:67], v[244:245], s[12:13] op_sel:[1,0] op_sel_hi:[0,0]
	v_pk_add_f32 v[56:57], v[56:57], v[16:17]
	v_pk_fma_f32 v[16:17], v[82:83], s[48:49], v[66:67] op_sel_hi:[1,0,1]
	v_pk_fma_f32 v[156:157], v[82:83], s[48:49], v[66:67] op_sel_hi:[1,0,1] neg_lo:[0,0,1] neg_hi:[0,0,1]
	v_mov_b32_e32 v66, v16
	v_mov_b32_e32 v67, v157
	v_pk_add_f32 v[66:67], v[66:67], v[56:57]
	v_pk_add_f32 v[56:57], v[8:9], v[14:15] neg_lo:[0,1] neg_hi:[0,1]
	v_pk_add_f32 v[132:133], v[14:15], v[8:9]
	v_pk_mul_f32 v[76:77], v[56:57], s[18:19] op_sel:[1,0] op_sel_hi:[0,0]
	v_pk_fma_f32 v[236:237], v[132:133], s[46:47], v[76:77] op_sel_hi:[1,0,1]
	v_pk_fma_f32 v[238:239], v[132:133], s[46:47], v[76:77] op_sel_hi:[1,0,1] neg_lo:[0,0,1] neg_hi:[0,0,1]
	v_mov_b32_e32 v76, v236
	v_mov_b32_e32 v77, v239
	v_pk_add_f32 v[58:59], v[76:77], v[58:59]
	v_pk_mul_f32 v[76:77], v[56:57], s[38:39] op_sel:[1,0] op_sel_hi:[0,0]
	v_pk_fma_f32 v[222:223], v[132:133], s[44:45], v[76:77] op_sel_hi:[1,0,1]
	v_pk_fma_f32 v[224:225], v[132:133], s[44:45], v[76:77] op_sel_hi:[1,0,1] neg_lo:[0,0,1] neg_hi:[0,0,1]
	v_mov_b32_e32 v76, v222
	v_mov_b32_e32 v77, v225
	;; [unrolled: 6-line block ×7, first 2 shown]
	v_pk_add_f32 v[60:61], v[10:11], v[12:13] neg_lo:[0,1] neg_hi:[0,1]
	v_pk_add_f32 v[66:67], v[54:55], v[66:67]
	v_pk_add_f32 v[150:151], v[12:13], v[10:11]
	v_pk_mul_f32 v[54:55], v[60:61], s[28:29] op_sel:[1,0] op_sel_hi:[0,0]
	v_pk_fma_f32 v[114:115], v[150:151], s[52:53], v[54:55] op_sel_hi:[1,0,1]
	v_pk_fma_f32 v[108:109], v[150:151], s[52:53], v[54:55] op_sel_hi:[1,0,1] neg_lo:[0,0,1] neg_hi:[0,0,1]
	v_mov_b32_e32 v54, v114
	v_mov_b32_e32 v55, v109
	v_pk_add_f32 v[170:171], v[54:55], v[58:59]
	v_pk_mul_f32 v[54:55], v[60:61], s[34:35] op_sel:[1,0] op_sel_hi:[0,0]
	v_pk_fma_f32 v[88:89], v[150:151], s[42:43], v[54:55] op_sel_hi:[1,0,1]
	v_pk_fma_f32 v[54:55], v[150:151], s[42:43], v[54:55] op_sel_hi:[1,0,1] neg_lo:[0,0,1] neg_hi:[0,0,1]
	v_mov_b32_e32 v58, v88
	v_mov_b32_e32 v59, v55
	;; [unrolled: 6-line block ×4, first 2 shown]
	v_pk_add_f32 v[76:77], v[38:39], v[76:77]
	v_pk_mul_f32 v[38:39], v[60:61], s[12:13] op_sel:[1,0] op_sel_hi:[0,0]
	v_accvgpr_write_b32 a43, v43
	v_pk_fma_f32 v[42:43], v[150:151], s[48:49], v[38:39] op_sel_hi:[1,0,1]
	v_pk_fma_f32 v[228:229], v[150:151], s[48:49], v[38:39] op_sel_hi:[1,0,1] neg_lo:[0,0,1] neg_hi:[0,0,1]
	v_mov_b32_e32 v38, v42
	v_mov_b32_e32 v39, v229
	v_pk_add_f32 v[168:169], v[38:39], v[94:95]
	v_pk_mul_f32 v[38:39], v[60:61], s[14:15] op_sel:[1,0] op_sel_hi:[0,0]
	v_pk_fma_f32 v[216:217], v[150:151], s[36:37], v[38:39] op_sel_hi:[1,0,1]
	v_pk_fma_f32 v[218:219], v[150:151], s[36:37], v[38:39] op_sel_hi:[1,0,1] neg_lo:[0,0,1] neg_hi:[0,0,1]
	v_mov_b32_e32 v38, v216
	v_mov_b32_e32 v39, v219
	v_pk_add_f32 v[240:241], v[38:39], v[62:63]
	v_pk_mul_f32 v[38:39], v[60:61], s[26:27] op_sel:[1,0] op_sel_hi:[0,0]
	v_pk_fma_f32 v[62:63], v[150:151], s[40:41], v[38:39] op_sel_hi:[1,0,1]
	v_pk_fma_f32 v[208:209], v[150:151], s[40:41], v[38:39] op_sel_hi:[1,0,1] neg_lo:[0,0,1] neg_hi:[0,0,1]
	v_mov_b32_e32 v38, v62
	v_mov_b32_e32 v39, v209
	v_pk_add_f32 v[172:173], v[38:39], v[66:67]
	v_pk_add_f32 v[38:39], v[4:5], v[6:7] neg_lo:[0,1] neg_hi:[0,1]
	v_pk_add_f32 v[176:177], v[6:7], v[4:5]
	v_pk_mul_f32 v[66:67], v[38:39], s[22:23] op_sel:[1,0] op_sel_hi:[0,0]
	v_pk_fma_f32 v[138:139], v[176:177], s[48:49], v[66:67] op_sel_hi:[1,0,1]
	v_pk_fma_f32 v[134:135], v[176:177], s[48:49], v[66:67] op_sel_hi:[1,0,1] neg_lo:[0,0,1] neg_hi:[0,0,1]
	v_mov_b32_e32 v66, v138
	v_mov_b32_e32 v67, v135
	v_pk_add_f32 v[18:19], v[66:67], v[18:19]
	v_mul_lo_u16_e32 v62, 17, v226
	v_accvgpr_write_b32 a4, v18
	v_accvgpr_write_b32 a5, v19
	v_pk_mul_f32 v[18:19], v[38:39], s[28:29] op_sel:[1,0] op_sel_hi:[0,0]
	v_pk_fma_f32 v[128:129], v[176:177], s[52:53], v[18:19] op_sel_hi:[1,0,1]
	v_pk_fma_f32 v[122:123], v[176:177], s[52:53], v[18:19] op_sel_hi:[1,0,1] neg_lo:[0,0,1] neg_hi:[0,0,1]
	v_mov_b32_e32 v18, v128
	v_mov_b32_e32 v19, v123
	v_pk_add_f32 v[18:19], v[18:19], v[58:59]
	s_nop 0
	v_accvgpr_write_b32 a6, v18
	v_accvgpr_write_b32 a7, v19
	v_pk_mul_f32 v[18:19], v[38:39], s[26:27] op_sel:[1,0] op_sel_hi:[0,0]
	v_pk_fma_f32 v[98:99], v[176:177], s[40:41], v[18:19] op_sel_hi:[1,0,1]
	v_pk_fma_f32 v[94:95], v[176:177], s[40:41], v[18:19] op_sel_hi:[1,0,1] neg_lo:[0,0,1] neg_hi:[0,0,1]
	v_mov_b32_e32 v18, v98
	v_mov_b32_e32 v19, v95
	v_pk_add_f32 v[18:19], v[18:19], v[76:77]
	s_barrier
	v_accvgpr_write_b32 a8, v18
	v_accvgpr_write_b32 a9, v19
	v_pk_mul_f32 v[18:19], v[38:39], s[18:19] op_sel:[1,0] op_sel_hi:[0,0]
	v_pk_fma_f32 v[76:77], v[176:177], s[46:47], v[18:19] op_sel_hi:[1,0,1]
	v_pk_fma_f32 v[66:67], v[176:177], s[46:47], v[18:19] op_sel_hi:[1,0,1] neg_lo:[0,0,1] neg_hi:[0,0,1]
	v_mov_b32_e32 v18, v76
	v_mov_b32_e32 v19, v67
	v_pk_add_f32 v[18:19], v[18:19], v[168:169]
	s_nop 0
	v_accvgpr_write_b32 a10, v18
	v_accvgpr_write_b32 a11, v19
	v_pk_mul_f32 v[18:19], v[38:39], s[34:35] op_sel:[1,0] op_sel_hi:[0,0]
	v_pk_fma_f32 v[250:251], v[176:177], s[42:43], v[18:19] op_sel_hi:[1,0,1]
	v_pk_fma_f32 v[252:253], v[176:177], s[42:43], v[18:19] op_sel_hi:[1,0,1] neg_lo:[0,0,1] neg_hi:[0,0,1]
	v_mov_b32_e32 v18, v250
	v_mov_b32_e32 v19, v253
	v_pk_add_f32 v[18:19], v[18:19], v[240:241]
	s_nop 0
	v_accvgpr_write_b32 a12, v18
	v_accvgpr_write_b32 a13, v19
	v_pk_mul_f32 v[18:19], v[38:39], s[20:21] op_sel:[1,0] op_sel_hi:[0,0]
	v_pk_fma_f32 v[240:241], v[176:177], s[44:45], v[18:19] op_sel_hi:[1,0,1]
	v_pk_fma_f32 v[242:243], v[176:177], s[44:45], v[18:19] op_sel_hi:[1,0,1] neg_lo:[0,0,1] neg_hi:[0,0,1]
	v_mov_b32_e32 v18, v240
	v_mov_b32_e32 v19, v243
	v_pk_add_f32 v[172:173], v[18:19], v[172:173]
	v_pk_mul_f32 v[18:19], v[38:39], s[14:15] op_sel:[1,0] op_sel_hi:[0,0]
	v_pk_fma_f32 v[168:169], v[176:177], s[36:37], v[18:19] op_sel_hi:[1,0,1]
	v_pk_fma_f32 v[58:59], v[176:177], s[36:37], v[18:19] op_sel_hi:[1,0,1] neg_lo:[0,0,1] neg_hi:[0,0,1]
	v_mov_b32_e32 v18, v168
	v_mov_b32_e32 v19, v59
	v_pk_add_f32 v[18:19], v[18:19], v[170:171]
	s_and_saveexec_b64 s[40:41], vcc
	s_cbranch_execz .LBB0_7
; %bb.6:
	v_pk_add_f32 v[2:3], v[2:3], v[0:1]
	v_mov_b32_e32 v153, v145
	v_pk_add_f32 v[2:3], v[32:33], v[2:3]
	v_accvgpr_read_b32 v145, a17
	v_pk_add_f32 v[170:171], v[34:35], v[2:3]
	v_mov_b32_e32 v2, v39
	v_mov_b32_e32 v3, v38
	v_pk_mul_f32 v[38:39], v[36:37], s[28:29]
	v_pk_add_f32 v[20:21], v[20:21], v[170:171]
	v_pk_add_f32 v[38:39], v[52:53], v[38:39] neg_lo:[0,1] neg_hi:[0,1]
	v_pk_mul_f32 v[52:53], v[46:47], s[34:35]
	v_mov_b32_e32 v39, v117
	v_pk_mul_f32 v[116:117], v[36:37], s[6:7]
	v_pk_add_f32 v[52:53], v[118:119], v[52:53] neg_lo:[0,1] neg_hi:[0,1]
	v_pk_add_f32 v[116:117], v[126:127], v[116:117] neg_lo:[0,1] neg_hi:[0,1]
	v_pk_mul_f32 v[118:119], v[46:47], s[14:15]
	v_pk_mul_f32 v[126:127], v[36:37], s[16:17]
	v_pk_add_f32 v[118:119], v[130:131], v[118:119] neg_lo:[0,1] neg_hi:[0,1]
	v_pk_add_f32 v[106:107], v[106:107], v[126:127] neg_lo:[0,1] neg_hi:[0,1]
	v_pk_mul_f32 v[126:127], v[46:47], s[18:19]
	v_accvgpr_read_b32 v131, a19
	v_pk_add_f32 v[112:113], v[112:113], v[126:127] neg_lo:[0,1] neg_hi:[0,1]
	v_pk_mul_f32 v[126:127], v[36:37], s[0:1]
	v_accvgpr_read_b32 v130, a18
	v_pk_add_f32 v[126:127], v[130:131], v[126:127] neg_lo:[0,1] neg_hi:[0,1]
	v_pk_mul_f32 v[130:131], v[46:47], s[6:7]
	v_pk_add_f32 v[20:21], v[22:23], v[20:21]
	v_pk_add_f32 v[92:93], v[92:93], v[130:131] neg_lo:[0,1] neg_hi:[0,1]
	v_pk_mul_f32 v[130:131], v[36:37], s[12:13]
	v_accvgpr_read_b32 v144, a16
	v_pk_add_f32 v[8:9], v[8:9], v[20:21]
	v_pk_add_f32 v[130:131], v[144:145], v[130:131] neg_lo:[0,1] neg_hi:[0,1]
	v_pk_add_f32 v[8:9], v[10:11], v[8:9]
	v_mov_b32_e32 v53, v65
	v_pk_mul_f32 v[64:65], v[46:47], s[24:25]
	v_accvgpr_read_b32 v131, a3
	v_pk_add_f32 v[4:5], v[4:5], v[8:9]
	v_pk_add_f32 v[64:65], v[166:167], v[64:65] neg_lo:[0,1] neg_hi:[0,1]
	v_mov_b32_e32 v127, v79
	v_pk_add_f32 v[4:5], v[6:7], v[4:5]
	v_pk_add_f32 v[6:7], v[130:131], v[0:1]
	v_accvgpr_read_b32 v79, a21
	v_mov_b32_e32 v65, v101
	v_pk_add_f32 v[4:5], v[12:13], v[4:5]
	v_pk_add_f32 v[6:7], v[78:79], v[6:7]
	v_accvgpr_read_b32 v101, a27
	v_pk_add_f32 v[4:5], v[14:15], v[4:5]
	v_pk_add_f32 v[6:7], v[100:101], v[6:7]
	v_accvgpr_read_b32 v141, a41
	v_pk_add_f32 v[4:5], v[24:25], v[4:5]
	v_pk_add_f32 v[6:7], v[140:141], v[6:7]
	v_mov_b32_e32 v183, v181
	v_pk_add_f32 v[4:5], v[26:27], v[4:5]
	v_pk_add_f32 v[6:7], v[182:183], v[6:7]
	v_mov_b32_e32 v239, v237
	;; [unrolled: 3-line block ×4, first 2 shown]
	v_mov_b32_e32 v32, v61
	v_mov_b32_e32 v33, v60
	v_pk_mul_f32 v[60:61], v[36:37], s[20:21]
	v_accvgpr_read_b32 v107, a29
	v_add_lshl_u32 v40, v41, v62, 3
	v_pk_add_f32 v[4:5], v[44:45], v[4:5]
	v_pk_add_f32 v[6:7], v[58:59], v[6:7]
	v_pk_add_f32 v[60:61], v[158:159], v[60:61] neg_lo:[0,1] neg_hi:[0,1]
	v_accvgpr_read_b32 v113, a31
	v_accvgpr_read_b32 v93, a25
	ds_write2_b64 v40, v[4:5], v[6:7] offset1:1
	v_pk_add_f32 v[4:5], v[126:127], v[0:1]
	v_pk_add_f32 v[6:7], v[106:107], v[0:1]
	v_mov_b32_e32 v61, v81
	v_mov_b32_e32 v81, v75
	;; [unrolled: 1-line block ×3, first 2 shown]
	v_pk_add_f32 v[4:5], v[92:93], v[4:5]
	v_accvgpr_read_b32 v91, a23
	v_pk_add_f32 v[6:7], v[112:113], v[6:7]
	v_pk_add_f32 v[4:5], v[90:91], v[4:5]
	v_accvgpr_read_b32 v125, a35
	v_mov_b32_e32 v175, v121
	v_pk_add_f32 v[6:7], v[74:75], v[6:7]
	v_accvgpr_read_b32 v121, a33
	v_pk_add_f32 v[4:5], v[124:125], v[4:5]
	v_pk_add_f32 v[6:7], v[120:121], v[6:7]
	v_accvgpr_read_b32 v165, a45
	v_pk_add_f32 v[4:5], v[174:175], v[4:5]
	v_mov_b32_e32 v225, v223
	v_pk_add_f32 v[6:7], v[164:165], v[6:7]
	v_mov_b32_e32 v213, v211
	v_pk_add_f32 v[4:5], v[224:225], v[4:5]
	v_mov_b32_e32 v55, v89
	v_pk_add_f32 v[6:7], v[212:213], v[6:7]
	v_mov_b32_e32 v249, v247
	v_pk_add_f32 v[4:5], v[54:55], v[4:5]
	v_mov_b32_e32 v135, v139
	v_pk_add_f32 v[6:7], v[248:249], v[6:7]
	v_mov_b32_e32 v123, v129
	v_accvgpr_read_b32 v117, a37
	v_pk_add_f32 v[4:5], v[134:135], v[4:5]
	v_pk_add_f32 v[6:7], v[122:123], v[6:7]
	v_accvgpr_read_b32 v119, a39
	ds_write2_b64 v40, v[4:5], v[6:7] offset0:2 offset1:3
	v_pk_add_f32 v[4:5], v[116:117], v[0:1]
	v_pk_add_f32 v[6:7], v[60:61], v[0:1]
	v_accvgpr_read_b32 v85, a47
	v_pk_add_f32 v[4:5], v[118:119], v[4:5]
	v_pk_add_f32 v[6:7], v[64:65], v[6:7]
	v_mov_b32_e32 v97, v189
	v_mov_b32_e32 v105, v179
	v_pk_add_f32 v[4:5], v[80:81], v[4:5]
	v_pk_add_f32 v[6:7], v[84:85], v[6:7]
	v_mov_b32_e32 v143, v235
	v_pk_add_f32 v[4:5], v[104:105], v[4:5]
	v_accvgpr_read_b32 v149, a43
	v_pk_add_f32 v[6:7], v[96:97], v[6:7]
	v_pk_add_f32 v[4:5], v[148:149], v[4:5]
	v_mov_b32_e32 v199, v197
	v_pk_add_f32 v[6:7], v[142:143], v[6:7]
	v_mov_b32_e32 v195, v193
	v_mov_b32_e32 v157, v17
	v_pk_mul_f32 v[16:17], v[36:37], s[18:19]
	v_pk_add_f32 v[4:5], v[198:199], v[4:5]
	v_mov_b32_e32 v233, v231
	v_pk_add_f32 v[6:7], v[194:195], v[6:7]
	v_mov_b32_e32 v229, v43
	v_mov_b32_e32 v34, v57
	;; [unrolled: 1-line block ×3, first 2 shown]
	v_pk_add_f32 v[16:17], v[200:201], v[16:17] neg_lo:[0,1] neg_hi:[0,1]
	v_pk_mul_f32 v[56:57], v[46:47], s[38:39]
	v_pk_add_f32 v[4:5], v[232:233], v[4:5]
	v_mov_b32_e32 v95, v99
	v_pk_add_f32 v[6:7], v[228:229], v[6:7]
	v_mov_b32_e32 v67, v77
	v_mov_b32_e32 v17, v203
	v_pk_add_f32 v[56:57], v[204:205], v[56:57] neg_lo:[0,1] neg_hi:[0,1]
	v_pk_add_f32 v[4:5], v[94:95], v[4:5]
	v_pk_add_f32 v[6:7], v[66:67], v[6:7]
	v_mov_b32_e32 v57, v207
	ds_write2_b64 v40, v[4:5], v[6:7] offset0:4 offset1:5
	v_pk_add_f32 v[4:5], v[16:17], v[0:1]
	v_pk_add_f32 v[6:7], v[38:39], v[0:1]
	v_mov_b32_e32 v103, v215
	v_pk_add_f32 v[4:5], v[56:57], v[4:5]
	v_pk_add_f32 v[6:7], v[52:53], v[6:7]
	v_mov_b32_e32 v155, v147
	v_mov_b32_e32 v111, v221
	v_pk_add_f32 v[4:5], v[102:103], v[4:5]
	v_pk_add_f32 v[6:7], v[152:153], v[6:7]
	v_mov_b32_e32 v137, v255
	v_pk_add_f32 v[4:5], v[110:111], v[4:5]
	v_pk_add_f32 v[6:7], v[154:155], v[6:7]
	v_mov_b32_e32 v185, v163
	v_mov_b32_e32 v187, v161
	v_pk_add_f32 v[4:5], v[136:137], v[4:5]
	v_pk_add_f32 v[6:7], v[156:157], v[6:7]
	v_mov_b32_e32 v209, v63
	v_pk_add_f32 v[4:5], v[186:187], v[4:5]
	v_mov_b32_e32 v219, v217
	v_pk_add_f32 v[6:7], v[184:185], v[6:7]
	v_pk_add_f32 v[4:5], v[218:219], v[4:5]
	v_mov_b32_e32 v253, v251
	v_pk_add_f32 v[6:7], v[208:209], v[6:7]
	v_mov_b32_e32 v243, v241
	v_pk_mul_f32 v[48:49], v[48:49], s[36:37]
	s_mov_b32 s36, s13
	s_mov_b32 s37, s22
	v_pk_add_f32 v[4:5], v[252:253], v[4:5]
	v_pk_add_f32 v[6:7], v[242:243], v[6:7]
	v_pk_mul_f32 v[86:87], v[86:87], s[36:37]
	v_mov_b32_e32 v50, v51
	s_mov_b32 s23, s13
	ds_write2_b64 v40, v[4:5], v[6:7] offset0:6 offset1:7
	v_pk_fma_f32 v[4:5], v[36:37], s[14:15], v[48:49] neg_lo:[1,0,0] neg_hi:[1,0,0]
	v_pk_fma_f32 v[6:7], v[36:37], s[14:15], v[48:49]
	v_pk_fma_f32 v[8:9], v[50:51], s[22:23], v[86:87] neg_lo:[1,0,0] neg_hi:[1,0,0]
	v_mov_b32_e32 v5, v7
	v_pk_fma_f32 v[10:11], v[46:47], s[22:23], v[86:87]
	v_pk_add_f32 v[4:5], v[4:5], v[0:1]
	v_mov_b32_e32 v9, v11
	v_pk_add_f32 v[4:5], v[8:9], v[4:5]
	s_mov_b32 s0, s25
	v_pk_mul_f32 v[8:9], v[70:71], s[28:29] op_sel_hi:[1,0]
	v_accvgpr_write_b32 a14, v172
	v_pk_fma_f32 v[12:13], v[68:69], s[0:1], v[8:9] op_sel:[0,0,1] op_sel_hi:[1,0,0] neg_lo:[0,0,1] neg_hi:[0,0,1]
	v_pk_fma_f32 v[8:9], v[68:69], s[0:1], v[8:9] op_sel:[0,0,1] op_sel_hi:[1,0,0]
	v_accvgpr_write_b32 a15, v173
	v_mov_b32_e32 v172, v191
	v_mov_b32_e32 v173, v190
	;; [unrolled: 1-line block ×4, first 2 shown]
	v_pk_add_f32 v[4:5], v[14:15], v[4:5]
	s_mov_b32 s0, s1
	v_pk_mul_f32 v[14:15], v[172:173], s[26:27] op_sel_hi:[1,0]
	v_mov_b32_e32 v190, v245
	v_pk_fma_f32 v[16:17], v[72:73], s[0:1], v[14:15] op_sel_hi:[1,0,1] neg_lo:[0,0,1] neg_hi:[0,0,1]
	v_pk_fma_f32 v[14:15], v[72:73], s[0:1], v[14:15] op_sel_hi:[1,0,1]
	v_mov_b32_e32 v191, v244
	v_mov_b32_e32 v20, v16
	;; [unrolled: 1-line block ×3, first 2 shown]
	v_pk_add_f32 v[4:5], v[20:21], v[4:5]
	s_mov_b32 s0, s19
	v_pk_mul_f32 v[20:21], v[190:191], s[18:19] op_sel_hi:[1,0]
	v_pk_mul_f32 v[2:3], v[2:3], s[30:31] op_sel_hi:[1,0]
	v_pk_fma_f32 v[22:23], v[82:83], s[0:1], v[20:21] op_sel_hi:[1,0,1] neg_lo:[0,0,1] neg_hi:[0,0,1]
	v_pk_fma_f32 v[20:21], v[82:83], s[0:1], v[20:21] op_sel_hi:[1,0,1]
	v_mov_b32_e32 v24, v22
	v_mov_b32_e32 v25, v21
	v_pk_add_f32 v[4:5], v[24:25], v[4:5]
	s_mov_b32 s0, s17
	v_pk_mul_f32 v[24:25], v[34:35], s[34:35] op_sel_hi:[1,0]
	v_mov_b32_e32 v9, v13
	v_pk_fma_f32 v[26:27], v[132:133], s[0:1], v[24:25] op_sel_hi:[1,0,1] neg_lo:[0,0,1] neg_hi:[0,0,1]
	v_pk_fma_f32 v[24:25], v[132:133], s[0:1], v[24:25] op_sel_hi:[1,0,1]
	v_mov_b32_e32 v28, v26
	v_mov_b32_e32 v29, v25
	v_pk_add_f32 v[4:5], v[28:29], v[4:5]
	s_mov_b32 s0, s21
	v_pk_mul_f32 v[28:29], v[32:33], s[20:21] op_sel_hi:[1,0]
	v_mov_b32_e32 v15, v17
	v_pk_fma_f32 v[30:31], v[150:151], s[0:1], v[28:29] op_sel_hi:[1,0,1] neg_lo:[0,0,1] neg_hi:[0,0,1]
	v_pk_fma_f32 v[28:29], v[150:151], s[0:1], v[28:29] op_sel_hi:[1,0,1]
	v_mov_b32_e32 v32, v30
	v_mov_b32_e32 v33, v29
	s_mov_b32 s0, s7
	v_pk_add_f32 v[4:5], v[32:33], v[4:5]
	v_pk_fma_f32 v[32:33], v[176:177], s[0:1], v[2:3] op_sel_hi:[1,0,1] neg_lo:[0,0,1] neg_hi:[0,0,1]
	v_pk_fma_f32 v[2:3], v[176:177], s[0:1], v[2:3] op_sel_hi:[1,0,1]
	v_mov_b32_e32 v34, v32
	v_mov_b32_e32 v35, v3
	v_pk_add_f32 v[4:5], v[34:35], v[4:5]
	v_pk_fma_f32 v[34:35], v[36:37], s[14:15], v[48:49] neg_lo:[0,0,1] neg_hi:[0,0,1]
	v_mov_b32_e32 v21, v23
	v_mov_b32_e32 v7, v35
	v_pk_add_f32 v[0:1], v[6:7], v[0:1]
	v_pk_fma_f32 v[6:7], v[46:47], s[22:23], v[86:87] neg_lo:[0,0,1] neg_hi:[0,0,1]
	v_mov_b32_e32 v25, v27
	v_mov_b32_e32 v11, v7
	v_pk_add_f32 v[0:1], v[10:11], v[0:1]
	v_mov_b32_e32 v29, v31
	v_pk_add_f32 v[0:1], v[8:9], v[0:1]
	;; [unrolled: 2-line block ×3, first 2 shown]
	v_accvgpr_read_b32 v173, a15
	v_pk_add_f32 v[0:1], v[20:21], v[0:1]
	v_accvgpr_read_b32 v172, a14
	v_pk_add_f32 v[0:1], v[24:25], v[0:1]
	s_nop 0
	v_pk_add_f32 v[0:1], v[28:29], v[0:1]
	s_nop 0
	v_pk_add_f32 v[0:1], v[2:3], v[0:1]
	ds_write2_b64 v40, v[4:5], v[0:1] offset0:8 offset1:9
	v_accvgpr_read_b32 v0, a12
	v_accvgpr_read_b32 v1, a13
	ds_write2_b64 v40, v[172:173], v[0:1] offset0:10 offset1:11
	v_accvgpr_read_b32 v0, a8
	v_accvgpr_read_b32 v2, a10
	;; [unrolled: 1-line block ×4, first 2 shown]
	ds_write2_b64 v40, v[2:3], v[0:1] offset0:12 offset1:13
	v_accvgpr_read_b32 v0, a4
	v_accvgpr_read_b32 v2, a6
	;; [unrolled: 1-line block ×4, first 2 shown]
	ds_write2_b64 v40, v[2:3], v[0:1] offset0:14 offset1:15
	ds_write_b64 v40, v[18:19] offset:128
.LBB0_7:
	s_or_b64 exec, exec, s[40:41]
	s_movk_i32 s0, 0xffef
	s_mov_b32 s1, -1
	v_lshl_add_u64 v[0:1], v[226:227], 0, s[0:1]
	v_cmp_gt_u16_e64 s[0:1], 17, v226
	s_load_dwordx4 s[4:7], s[4:5], 0x0
	s_waitcnt lgkmcnt(0)
	v_cndmask_b32_e64 v17, v1, 0, s[0:1]
	v_cndmask_b32_e64 v16, v0, v226, s[0:1]
	v_lshl_add_u64 v[0:1], v[16:17], 3, s[10:11]
	s_barrier
	global_load_dwordx2 v[44:45], v[0:1], off
	v_add_u16_e32 v0, 34, v226
	s_movk_i32 s0, 0xf1
	v_mul_lo_u16_sdwa v1, v0, s0 dst_sel:DWORD dst_unused:UNUSED_PAD src0_sel:BYTE_0 src1_sel:DWORD
	v_lshrrev_b16_e32 v17, 12, v1
	v_mul_lo_u16_e32 v1, 17, v17
	v_sub_u16_e32 v26, v0, v1
	v_add_u16_e32 v1, 0x44, v226
	v_mul_lo_u16_sdwa v2, v1, s0 dst_sel:DWORD dst_unused:UNUSED_PAD src0_sel:BYTE_0 src1_sel:DWORD
	v_lshrrev_b16_e32 v27, 12, v2
	v_mul_lo_u16_e32 v2, 17, v27
	v_sub_u16_e32 v28, v1, v2
	v_add_u16_e32 v2, 0x66, v226
	;; [unrolled: 5-line block ×3, first 2 shown]
	v_mul_lo_u16_sdwa v4, v3, s0 dst_sel:DWORD dst_unused:UNUSED_PAD src0_sel:BYTE_0 src1_sel:DWORD
	v_lshrrev_b16_e32 v31, 12, v4
	v_mul_lo_u16_e32 v4, 17, v31
	v_mov_b32_e32 v0, 3
	v_sub_u16_e32 v32, v3, v4
	v_lshlrev_b32_sdwa v3, v0, v32 dst_sel:DWORD dst_unused:UNUSED_PAD src0_sel:DWORD src1_sel:BYTE_0
	v_lshlrev_b32_sdwa v1, v0, v28 dst_sel:DWORD dst_unused:UNUSED_PAD src0_sel:DWORD src1_sel:BYTE_0
	;; [unrolled: 1-line block ×3, first 2 shown]
	global_load_dwordx2 v[52:53], v3, s[10:11]
	global_load_dwordx2 v[48:49], v1, s[10:11]
	global_load_dwordx2 v[50:51], v2, s[10:11]
	v_lshlrev_b32_sdwa v0, v0, v26 dst_sel:DWORD dst_unused:UNUSED_PAD src0_sel:DWORD src1_sel:BYTE_0
	global_load_dwordx2 v[46:47], v0, s[10:11]
	v_add_lshl_u32 v254, v41, v226, 3
	ds_read2_b64 v[0:3], v254 offset0:136 offset1:170
	v_add_u32_e32 v36, 0x800, v254
	ds_read2_b64 v[4:7], v254 offset0:68 offset1:102
	ds_read2_b64 v[8:11], v254 offset0:204 offset1:238
	ds_read2_b64 v[12:15], v254 offset1:34
	ds_read2_b64 v[20:23], v36 offset0:16 offset1:50
	v_cmp_lt_u16_e64 s[0:1], 16, v226
	v_mul_u32_u24_e32 v27, 34, v27
	v_mul_u32_u24_e32 v29, 34, v29
	v_cndmask_b32_e64 v33, 0, 34, s[0:1]
	v_add_u32_e32 v16, v16, v33
	v_mul_u32_u24_e32 v31, 34, v31
	v_add_lshl_u32 v126, v41, v16, 3
	v_mad_legacy_u16 v16, v17, 34, v26
	v_add_u32_sdwa v17, v27, v28 dst_sel:DWORD dst_unused:UNUSED_PAD src0_sel:DWORD src1_sel:BYTE_0
	v_add_u32_sdwa v26, v29, v30 dst_sel:DWORD dst_unused:UNUSED_PAD src0_sel:DWORD src1_sel:BYTE_0
	;; [unrolled: 1-line block ×3, first 2 shown]
	v_add_lshl_u32 v128, v41, v26, 3
	v_add_lshl_u32 v129, v41, v27, 3
	v_and_b32_e32 v16, 0xff, v16
	v_add_lshl_u32 v127, v41, v17, 3
	v_add_lshl_u32 v130, v41, v16, 3
	v_mov_b64_e32 v[24:25], s[10:11]
	s_movk_i32 s0, 0x48
	s_waitcnt lgkmcnt(0)
	s_barrier
	s_mov_b32 s12, 0x3f737871
	s_mov_b32 s10, 0x3f167918
	s_mov_b32 s14, 0xbf167918
	s_mov_b32 s15, s10
	s_waitcnt vmcnt(4)
	v_pk_mul_f32 v[16:17], v[2:3], v[44:45] op_sel:[0,1]
	s_waitcnt vmcnt(3)
	v_pk_mul_f32 v[26:27], v[22:23], v[52:53] op_sel:[0,1]
	;; [unrolled: 2-line block ×4, first 2 shown]
	v_pk_fma_f32 v[34:35], v[22:23], v[52:53], v[26:27] op_sel:[0,0,1] op_sel_hi:[1,1,0] neg_lo:[0,0,1] neg_hi:[0,0,1]
	v_pk_fma_f32 v[22:23], v[22:23], v[52:53], v[26:27] op_sel:[0,0,1] op_sel_hi:[1,0,0]
	v_pk_fma_f32 v[26:27], v[20:21], v[50:51], v[28:29] op_sel:[0,0,1] op_sel_hi:[1,1,0] neg_lo:[0,0,1] neg_hi:[0,0,1]
	v_pk_fma_f32 v[20:21], v[20:21], v[50:51], v[28:29] op_sel:[0,0,1] op_sel_hi:[1,0,0]
	s_waitcnt vmcnt(0)
	v_pk_mul_f32 v[32:33], v[8:9], v[46:47] op_sel:[0,1]
	v_pk_fma_f32 v[28:29], v[10:11], v[48:49], v[30:31] op_sel:[0,0,1] op_sel_hi:[1,1,0] neg_lo:[0,0,1] neg_hi:[0,0,1]
	v_pk_fma_f32 v[10:11], v[10:11], v[48:49], v[30:31] op_sel:[0,0,1] op_sel_hi:[1,0,0]
	v_mov_b32_e32 v27, v21
	v_pk_fma_f32 v[30:31], v[8:9], v[46:47], v[32:33] op_sel:[0,0,1] op_sel_hi:[1,1,0] neg_lo:[0,0,1] neg_hi:[0,0,1]
	v_pk_fma_f32 v[8:9], v[8:9], v[46:47], v[32:33] op_sel:[0,0,1] op_sel_hi:[1,0,0]
	v_mov_b32_e32 v29, v11
	v_pk_add_f32 v[10:11], v[6:7], v[26:27] neg_lo:[0,1] neg_hi:[0,1]
	v_pk_fma_f32 v[26:27], v[2:3], v[44:45], v[16:17] op_sel:[0,0,1] op_sel_hi:[1,1,0] neg_lo:[0,0,1] neg_hi:[0,0,1]
	v_pk_fma_f32 v[2:3], v[2:3], v[44:45], v[16:17] op_sel:[0,0,1] op_sel_hi:[1,0,0]
	v_mov_b32_e32 v35, v23
	v_mov_b32_e32 v31, v9
	;; [unrolled: 1-line block ×3, first 2 shown]
	v_pk_add_f32 v[8:9], v[0:1], v[34:35] neg_lo:[0,1] neg_hi:[0,1]
	v_pk_add_f32 v[20:21], v[4:5], v[28:29] neg_lo:[0,1] neg_hi:[0,1]
	;; [unrolled: 1-line block ×4, first 2 shown]
	v_pk_fma_f32 v[0:1], v[0:1], 2.0, v[8:9] op_sel_hi:[1,0,1] neg_lo:[0,0,1] neg_hi:[0,0,1]
	v_pk_fma_f32 v[6:7], v[6:7], 2.0, v[10:11] op_sel_hi:[1,0,1] neg_lo:[0,0,1] neg_hi:[0,0,1]
	;; [unrolled: 1-line block ×5, first 2 shown]
	v_mad_u64_u32 v[16:17], s[0:1], v226, s0, v[24:25]
	ds_write2_b64 v126, v[12:13], v[2:3] offset1:17
	ds_write2_b64 v130, v[14:15], v[22:23] offset1:17
	;; [unrolled: 1-line block ×5, first 2 shown]
	s_waitcnt lgkmcnt(0)
	s_barrier
	global_load_dwordx4 v[12:15], v[16:17], off offset:136
	global_load_dwordx4 v[8:11], v[16:17], off offset:152
	;; [unrolled: 1-line block ×4, first 2 shown]
	global_load_dwordx2 v[54:55], v[16:17], off offset:200
	ds_read2_b64 v[20:23], v254 offset1:34
	ds_read2_b64 v[24:27], v254 offset0:68 offset1:102
	ds_read2_b64 v[28:31], v254 offset0:136 offset1:170
	;; [unrolled: 1-line block ×4, first 2 shown]
	s_mov_b32 s0, 0x3e9e377a
	s_waitcnt vmcnt(4) lgkmcnt(4)
	v_pk_mul_f32 v[16:17], v[22:23], v[12:13] op_sel:[0,1]
	v_mov_b32_e32 v56, v15
	s_waitcnt vmcnt(3) lgkmcnt(3)
	v_pk_mul_f32 v[58:59], v[26:27], v[8:9] op_sel:[0,1]
	v_mov_b32_e32 v60, v11
	;; [unrolled: 3-line block ×4, first 2 shown]
	v_pk_fma_f32 v[74:75], v[22:23], v[12:13], v[16:17] op_sel:[0,0,1] op_sel_hi:[1,1,0] neg_lo:[0,0,1] neg_hi:[0,0,1]
	v_pk_fma_f32 v[16:17], v[22:23], v[12:13], v[16:17] op_sel:[0,0,1] op_sel_hi:[1,0,0]
	v_pk_mul_f32 v[22:23], v[24:25], v[56:57] op_sel_hi:[1,0]
	v_pk_fma_f32 v[56:57], v[26:27], v[8:9], v[58:59] op_sel:[0,0,1] op_sel_hi:[1,1,0] neg_lo:[0,0,1] neg_hi:[0,0,1]
	v_pk_fma_f32 v[26:27], v[26:27], v[8:9], v[58:59] op_sel:[0,0,1] op_sel_hi:[1,0,0]
	v_pk_mul_f32 v[58:59], v[28:29], v[60:61] op_sel_hi:[1,0]
	;; [unrolled: 3-line block ×3, first 2 shown]
	v_pk_fma_f32 v[66:67], v[34:35], v[0:1], v[68:69] op_sel:[0,0,1] op_sel_hi:[1,1,0] neg_lo:[0,0,1] neg_hi:[0,0,1]
	v_pk_fma_f32 v[34:35], v[34:35], v[0:1], v[68:69] op_sel:[0,0,1] op_sel_hi:[1,0,0]
	s_waitcnt lgkmcnt(0)
	v_pk_mul_f32 v[68:69], v[36:37], v[70:71] op_sel_hi:[1,0]
	v_mov_b32_e32 v75, v17
	v_pk_fma_f32 v[16:17], v[24:25], v[14:15], v[22:23] op_sel:[0,0,1] op_sel_hi:[1,1,0] neg_lo:[0,0,1] neg_hi:[0,0,1]
	v_pk_fma_f32 v[22:23], v[24:25], v[14:15], v[22:23] op_sel:[0,0,1] op_sel_hi:[1,0,0]
	v_mov_b32_e32 v57, v27
	v_pk_fma_f32 v[26:27], v[28:29], v[10:11], v[58:59] op_sel:[0,0,1] op_sel_hi:[1,1,0] neg_lo:[0,0,1] neg_hi:[0,0,1]
	v_pk_fma_f32 v[24:25], v[28:29], v[10:11], v[58:59] op_sel:[0,0,1] op_sel_hi:[1,0,0]
	;; [unrolled: 3-line block ×4, first 2 shown]
	s_waitcnt vmcnt(0)
	v_pk_mul_f32 v[72:73], v[38:39], v[54:55] op_sel:[0,1]
	v_mov_b32_e32 v17, v23
	v_mov_b32_e32 v33, v35
	v_pk_fma_f32 v[70:71], v[38:39], v[54:55], v[72:73] op_sel:[0,0,1] op_sel_hi:[1,1,0] neg_lo:[0,0,1] neg_hi:[0,0,1]
	v_pk_fma_f32 v[38:39], v[38:39], v[54:55], v[72:73] op_sel:[0,0,1] op_sel_hi:[1,0,0]
	v_mov_b32_e32 v27, v25
	v_mov_b32_e32 v29, v31
	v_pk_add_f32 v[22:23], v[16:17], v[32:33]
	v_mov_b32_e32 v71, v39
	v_pk_add_f32 v[34:35], v[26:27], v[28:29] neg_lo:[0,1] neg_hi:[0,1]
	v_pk_add_f32 v[24:25], v[26:27], v[16:17] neg_lo:[0,1] neg_hi:[0,1]
	;; [unrolled: 1-line block ×3, first 2 shown]
	v_pk_add_f32 v[38:39], v[20:21], v[16:17]
	v_pk_fma_f32 v[22:23], v[22:23], 0.5, v[20:21] op_sel_hi:[1,0,1] neg_lo:[1,0,0] neg_hi:[1,0,0]
	v_pk_add_f32 v[30:31], v[16:17], v[32:33] neg_lo:[0,1] neg_hi:[0,1]
	v_pk_add_f32 v[24:25], v[24:25], v[36:37]
	v_pk_add_f32 v[36:37], v[38:39], v[26:27]
	v_pk_fma_f32 v[38:39], v[34:35], s[12:13], v[22:23] op_sel:[1,0,0] op_sel_hi:[0,0,1] neg_lo:[1,0,0] neg_hi:[1,0,0]
	v_pk_fma_f32 v[22:23], v[34:35], s[12:13], v[22:23] op_sel:[1,0,0] op_sel_hi:[0,0,1]
	v_pk_fma_f32 v[22:23], v[30:31], s[10:11], v[22:23] op_sel:[1,0,0] op_sel_hi:[0,0,1] neg_lo:[1,0,0] neg_hi:[1,0,0]
	v_pk_fma_f32 v[38:39], v[30:31], s[10:11], v[38:39] op_sel:[1,0,0] op_sel_hi:[0,0,1]
	v_mov_b32_e32 v65, v23
	v_mov_b32_e32 v23, v39
	v_pk_add_f32 v[68:69], v[56:57], v[70:71]
	v_pk_add_f32 v[84:85], v[60:61], v[66:67]
	v_mov_b32_e32 v64, v38
	v_pk_fma_f32 v[38:39], v[24:25], s[0:1], v[22:23] op_sel_hi:[1,0,1]
	v_pk_add_f32 v[22:23], v[56:57], v[70:71] neg_lo:[0,1] neg_hi:[0,1]
	v_pk_fma_f32 v[68:69], v[68:69], 0.5, v[74:75] op_sel_hi:[1,0,1] neg_lo:[1,0,0] neg_hi:[1,0,0]
	v_pk_add_f32 v[82:83], v[74:75], v[56:57]
	v_pk_fma_f32 v[74:75], v[84:85], 0.5, v[74:75] op_sel_hi:[1,0,1] neg_lo:[1,0,0] neg_hi:[1,0,0]
	v_pk_fma_f32 v[64:65], v[24:25], s[0:1], v[64:65] op_sel_hi:[1,0,1]
	v_pk_add_f32 v[24:25], v[60:61], v[66:67] neg_lo:[0,1] neg_hi:[0,1]
	v_pk_add_f32 v[78:79], v[60:61], v[56:57] neg_lo:[0,1] neg_hi:[0,1]
	;; [unrolled: 1-line block ×3, first 2 shown]
	v_pk_fma_f32 v[84:85], v[22:23], s[12:13], v[74:75] op_sel:[1,0,0] op_sel_hi:[0,0,1]
	v_pk_fma_f32 v[74:75], v[22:23], s[12:13], v[74:75] op_sel:[1,0,0] op_sel_hi:[0,0,1] neg_lo:[1,0,0] neg_hi:[1,0,0]
	v_pk_fma_f32 v[72:73], v[24:25], s[12:13], v[68:69] op_sel:[1,0,0] op_sel_hi:[0,0,1]
	v_pk_add_f32 v[78:79], v[78:79], v[80:81]
	v_pk_fma_f32 v[84:85], v[24:25], s[10:11], v[84:85] op_sel:[1,0,0] op_sel_hi:[0,0,1]
	v_pk_fma_f32 v[74:75], v[24:25], s[10:11], v[74:75] op_sel:[1,0,0] op_sel_hi:[0,0,1] neg_lo:[1,0,0] neg_hi:[1,0,0]
	v_pk_fma_f32 v[24:25], v[24:25], s[12:13], v[68:69] op_sel:[1,0,0] op_sel_hi:[0,0,1] neg_lo:[1,0,0] neg_hi:[1,0,0]
	v_pk_add_f32 v[16:17], v[16:17], v[26:27] neg_lo:[0,1] neg_hi:[0,1]
	v_pk_mul_f32 v[76:77], v[22:23], s[10:11] op_sel:[1,0] op_sel_hi:[0,0]
	v_pk_fma_f32 v[72:73], v[22:23], s[10:11], v[72:73] op_sel:[1,0,0] op_sel_hi:[0,0,1] neg_lo:[1,0,0] neg_hi:[1,0,0]
	v_pk_mul_f32 v[80:81], v[78:79], s[0:1] op_sel_hi:[1,0]
	v_pk_fma_f32 v[22:23], v[22:23], s[10:11], v[24:25] op_sel:[1,0,0] op_sel_hi:[0,0,1]
	v_pk_add_f32 v[26:27], v[26:27], v[28:29]
	v_add_f32_e32 v40, v80, v72
	v_mov_b32_e32 v23, v73
	v_add_f32_e32 v24, v77, v25
	v_pk_fma_f32 v[20:21], v[26:27], 0.5, v[20:21] op_sel_hi:[1,0,1] neg_lo:[1,0,0] neg_hi:[1,0,0]
	v_pk_add_f32 v[82:83], v[82:83], v[60:61]
	v_pk_add_f32 v[56:57], v[56:57], v[60:61] neg_lo:[0,1] neg_hi:[0,1]
	v_pk_add_f32 v[60:61], v[70:71], v[66:67] neg_lo:[0,1] neg_hi:[0,1]
	v_pk_fma_f32 v[22:23], v[78:79], s[0:1], v[22:23] op_sel_hi:[1,0,1]
	v_add_f32_e32 v41, v81, v24
	v_mul_f32_e32 v24, 0x3e9e377a, v40
	v_pk_fma_f32 v[26:27], v[30:31], s[12:13], v[20:21] op_sel:[1,0,0] op_sel_hi:[0,0,1]
	v_pk_fma_f32 v[20:21], v[30:31], s[12:13], v[20:21] op_sel:[1,0,0] op_sel_hi:[0,0,1] neg_lo:[1,0,0] neg_hi:[1,0,0]
	v_pk_add_f32 v[56:57], v[56:57], v[60:61]
	v_fma_f32 v60, v41, s12, -v24
	v_pk_mul_f32 v[24:25], v[22:23], s[12:13] op_sel_hi:[1,0]
	v_pk_fma_f32 v[30:31], v[34:35], s[10:11], v[20:21] op_sel:[1,0,0] op_sel_hi:[0,0,1] neg_lo:[1,0,0] neg_hi:[1,0,0]
	v_pk_fma_f32 v[20:21], v[34:35], s[10:11], v[26:27] op_sel:[1,0,0] op_sel_hi:[0,0,1]
	v_mov_b32_e32 v86, v84
	v_mov_b32_e32 v87, v75
	v_pk_fma_f32 v[68:69], v[22:23], s[0:1], v[24:25] op_sel:[0,0,1] op_sel_hi:[1,0,0]
	v_pk_fma_f32 v[22:23], v[22:23], s[0:1], v[24:25] op_sel:[0,0,1] op_sel_hi:[1,0,0] neg_lo:[0,0,1] neg_hi:[0,0,1]
	s_mov_b32 s1, 0xbf737871
	v_mov_b32_e32 v75, v85
	v_mov_b32_e32 v26, v20
	;; [unrolled: 1-line block ×4, first 2 shown]
	v_pk_add_f32 v[20:21], v[82:83], v[66:67]
	v_pk_fma_f32 v[72:73], v[56:57], s[0:1], v[74:75] op_sel_hi:[1,0,1]
	v_pk_add_f32 v[34:35], v[20:21], v[70:71]
	v_pk_fma_f32 v[20:21], v[56:57], s[0:1], v[86:87] op_sel_hi:[1,0,1]
	v_pk_add_f32 v[58:59], v[32:33], v[28:29] neg_lo:[0,1] neg_hi:[0,1]
	v_pk_mul_f32 v[74:75], v[72:73], s[14:15]
	s_mov_b32 s14, 0x3f4f1bbd
	v_pk_add_f32 v[36:37], v[36:37], v[28:29]
	v_pk_mul_f32 v[28:29], v[20:21], s[10:11] op_sel_hi:[1,0]
	v_mov_b32_e32 v69, v23
	v_mul_f32_e32 v24, 0x3e9e377a, v41
	v_pk_add_f32 v[32:33], v[36:37], v[32:33]
	v_pk_add_f32 v[16:17], v[16:17], v[58:59]
	v_pk_fma_f32 v[36:37], v[20:21], s[14:15], v[28:29] op_sel:[0,0,1] op_sel_hi:[1,0,0]
	v_pk_fma_f32 v[20:21], v[20:21], s[14:15], v[28:29] op_sel:[0,0,1] op_sel_hi:[1,0,0] neg_lo:[0,0,1] neg_hi:[0,0,1]
	v_pk_add_f32 v[22:23], v[64:65], v[68:69]
	v_fma_f32 v61, v40, s1, -v24
	v_pk_add_f32 v[24:25], v[64:65], v[68:69] neg_lo:[0,1] neg_hi:[0,1]
	v_pk_fma_f32 v[68:69], v[72:73], s[14:15], v[74:75] op_sel:[0,0,1] op_sel_hi:[1,0,0] neg_lo:[1,0,0] neg_hi:[1,0,0]
	v_pk_fma_f32 v[26:27], v[16:17], s[0:1], v[26:27] op_sel_hi:[1,0,1]
	v_mov_b32_e32 v37, v21
	v_pk_fma_f32 v[16:17], v[16:17], s[0:1], v[30:31] op_sel_hi:[1,0,1]
	v_pk_add_f32 v[64:65], v[32:33], v[34:35]
	v_pk_add_f32 v[20:21], v[26:27], v[36:37]
	v_pk_add_f32 v[32:33], v[32:33], v[34:35] neg_lo:[0,1] neg_hi:[0,1]
	v_pk_add_f32 v[34:35], v[26:27], v[36:37] neg_lo:[0,1] neg_hi:[0,1]
	v_pk_add_f32 v[30:31], v[16:17], v[68:69]
	v_pk_add_f32 v[36:37], v[16:17], v[68:69] neg_lo:[0,1] neg_hi:[0,1]
	v_accvgpr_read_b32 v16, a1
	v_lshl_add_u32 v255, v226, 3, v16
	v_pk_add_f32 v[28:29], v[38:39], v[60:61]
	v_pk_add_f32 v[26:27], v[38:39], v[60:61] neg_lo:[0,1] neg_hi:[0,1]
	v_lshl_add_u32 v131, v226, 3, v16
	v_add_u32_e32 v16, 0x400, v255
	ds_write_b64 v131, v[64:65]
	ds_write2_b64 v255, v[20:21], v[22:23] offset0:34 offset1:68
	ds_write2_b64 v255, v[28:29], v[30:31] offset0:102 offset1:136
	;; [unrolled: 1-line block ×4, first 2 shown]
	ds_write_b64 v255, v[36:37] offset:2448
	s_waitcnt lgkmcnt(0)
	s_barrier
	s_and_saveexec_b64 s[0:1], vcc
	s_cbranch_execz .LBB0_9
; %bb.8:
	v_accvgpr_read_b32 v41, a0
	global_load_dwordx2 v[16:17], v41, s[2:3] offset:2720
	s_add_u32 s10, s2, 0xaa0
	s_addc_u32 s11, s3, 0
	global_load_dwordx2 v[38:39], v41, s[10:11] offset:160
	global_load_dwordx2 v[60:61], v41, s[10:11] offset:320
	global_load_dwordx2 v[90:91], v41, s[10:11] offset:480
	global_load_dwordx2 v[92:93], v41, s[10:11] offset:640
	global_load_dwordx2 v[94:95], v41, s[10:11] offset:800
	global_load_dwordx2 v[96:97], v41, s[10:11] offset:960
	global_load_dwordx2 v[98:99], v41, s[10:11] offset:1120
	global_load_dwordx2 v[100:101], v41, s[10:11] offset:1280
	global_load_dwordx2 v[102:103], v41, s[10:11] offset:1440
	global_load_dwordx2 v[104:105], v41, s[10:11] offset:1600
	global_load_dwordx2 v[106:107], v41, s[10:11] offset:1760
	global_load_dwordx2 v[108:109], v41, s[10:11] offset:1920
	global_load_dwordx2 v[110:111], v41, s[10:11] offset:2080
	global_load_dwordx2 v[112:113], v41, s[10:11] offset:2240
	global_load_dwordx2 v[114:115], v41, s[10:11] offset:2400
	global_load_dwordx2 v[116:117], v41, s[10:11] offset:2560
	ds_read_b64 v[56:57], v131
	v_add_u32_e32 v40, 0x800, v255
	s_waitcnt vmcnt(16) lgkmcnt(0)
	v_mul_f32_e32 v41, v57, v17
	v_mul_f32_e32 v59, v56, v17
	v_fma_f32 v58, v56, v16, -v41
	v_fmac_f32_e32 v59, v57, v16
	ds_write_b64 v131, v[58:59]
	ds_read2_b64 v[56:59], v255 offset0:20 offset1:40
	ds_read2_b64 v[66:69], v255 offset0:60 offset1:80
	;; [unrolled: 1-line block ×7, first 2 shown]
	s_waitcnt vmcnt(15) lgkmcnt(6)
	v_mul_f32_e32 v16, v57, v39
	v_mul_f32_e32 v17, v56, v39
	s_waitcnt vmcnt(14)
	v_mul_f32_e32 v41, v59, v61
	v_mul_f32_e32 v39, v58, v61
	s_waitcnt vmcnt(13) lgkmcnt(5)
	v_mul_f32_e32 v42, v67, v91
	v_mul_f32_e32 v61, v66, v91
	s_waitcnt vmcnt(12)
	v_mul_f32_e32 v43, v69, v93
	v_mul_f32_e32 v91, v68, v93
	;; [unrolled: 6-line block ×6, first 2 shown]
	v_fma_f32 v16, v56, v38, -v16
	v_fmac_f32_e32 v17, v57, v38
	v_fma_f32 v38, v58, v60, -v41
	v_fmac_f32_e32 v39, v59, v60
	;; [unrolled: 2-line block ×12, first 2 shown]
	ds_write2_b64 v255, v[16:17], v[38:39] offset0:20 offset1:40
	ds_write2_b64 v255, v[60:61], v[90:91] offset0:60 offset1:80
	;; [unrolled: 1-line block ×6, first 2 shown]
	ds_read2_b64 v[56:59], v40 offset0:44 offset1:64
	s_waitcnt vmcnt(3) lgkmcnt(7)
	v_mul_f32_e32 v125, v87, v111
	v_mul_f32_e32 v109, v86, v111
	s_waitcnt vmcnt(2)
	v_mul_f32_e32 v16, v89, v113
	v_mul_f32_e32 v17, v88, v113
	v_fma_f32 v108, v86, v110, -v125
	v_fmac_f32_e32 v109, v87, v110
	v_fma_f32 v16, v88, v112, -v16
	v_fmac_f32_e32 v17, v89, v112
	ds_write2_b64 v40, v[108:109], v[16:17] offset0:4 offset1:24
	s_waitcnt vmcnt(1) lgkmcnt(1)
	v_mul_f32_e32 v16, v57, v115
	v_mul_f32_e32 v17, v56, v115
	s_waitcnt vmcnt(0)
	v_mul_f32_e32 v38, v59, v117
	v_mul_f32_e32 v39, v58, v117
	v_fma_f32 v16, v56, v114, -v16
	v_fmac_f32_e32 v17, v57, v114
	v_fma_f32 v38, v58, v116, -v38
	v_fmac_f32_e32 v39, v59, v116
	ds_write2_b64 v40, v[16:17], v[38:39] offset0:44 offset1:64
.LBB0_9:
	s_or_b64 exec, exec, s[0:1]
	s_waitcnt lgkmcnt(0)
	s_barrier
	s_and_saveexec_b64 s[0:1], vcc
	s_cbranch_execz .LBB0_11
; %bb.10:
	ds_read2_b64 v[20:23], v131 offset0:20 offset1:40
	ds_read_b64 v[64:65], v131
	ds_read2_b64 v[28:31], v131 offset0:60 offset1:80
	ds_read2_b64 v[32:35], v131 offset0:100 offset1:120
	v_add_u32_e32 v24, 0x800, v131
	ds_read2_b64 v[16:19], v24 offset0:44 offset1:64
	ds_read2_b64 v[56:59], v24 offset0:4 offset1:24
	;; [unrolled: 1-line block ×5, first 2 shown]
	s_waitcnt lgkmcnt(4)
	v_accvgpr_write_b32 a4, v16
	s_waitcnt lgkmcnt(3)
	v_accvgpr_write_b32 a6, v58
	v_accvgpr_write_b32 a8, v56
	s_waitcnt lgkmcnt(1)
	v_accvgpr_write_b32 a10, v68
	v_accvgpr_write_b32 a12, v66
	;; [unrolled: 1-line block ×7, first 2 shown]
	s_waitcnt lgkmcnt(0)
	v_mov_b64_e32 v[172:173], v[38:39]
.LBB0_11:
	s_or_b64 exec, exec, s[0:1]
	v_mov_b32_e32 v92, v52
	v_mov_b32_e32 v93, v52
	;; [unrolled: 1-line block ×42, first 2 shown]
	s_barrier
	s_and_saveexec_b64 s[0:1], vcc
	s_cbranch_execz .LBB0_13
; %bb.12:
	v_pk_add_f32 v[16:17], v[20:21], v[64:65]
	v_accvgpr_read_b32 v61, a13
	v_pk_add_f32 v[16:17], v[22:23], v[16:17]
	v_accvgpr_read_b32 v60, a12
	;; [unrolled: 2-line block ×11, first 2 shown]
	v_pk_add_f32 v[38:39], v[58:59], v[38:39]
	v_lshl_add_u32 v94, v62, 3, v16
	v_pk_add_f32 v[38:39], v[56:57], v[38:39]
	v_pk_add_f32 v[186:187], v[18:19], v[20:21]
	;; [unrolled: 1-line block ×3, first 2 shown]
	v_pk_add_f32 v[188:189], v[20:21], v[18:19] neg_lo:[0,1] neg_hi:[0,1]
	v_pk_add_f32 v[38:39], v[40:41], v[38:39]
	s_mov_b32 s26, 0xbeb8f4ab
	v_pk_add_f32 v[16:17], v[18:19], v[38:39]
	v_mov_b64_e32 v[18:19], v[172:173]
	v_pk_add_f32 v[184:185], v[22:23], v[40:41] neg_lo:[0,1] neg_hi:[0,1]
	v_pk_add_f32 v[142:143], v[18:19], v[24:25]
	v_pk_add_f32 v[148:149], v[24:25], v[18:19] neg_lo:[0,1] neg_hi:[0,1]
	s_mov_b32 s16, 0x3f6eb680
	v_pk_mul_f32 v[18:19], v[188:189], s[26:27] op_sel_hi:[1,0]
	s_mov_b32 s40, 0xbf2c7751
	v_pk_add_f32 v[182:183], v[40:41], v[22:23]
	v_pk_fma_f32 v[20:21], v[186:187], s[16:17], v[18:19] op_sel:[0,0,1] op_sel_hi:[1,0,0]
	v_pk_fma_f32 v[18:19], v[186:187], s[16:17], v[18:19] op_sel:[0,0,1] op_sel_hi:[1,0,0] neg_lo:[0,0,1] neg_hi:[0,0,1]
	s_mov_b32 s14, 0x3f3d2fb0
	v_pk_mul_f32 v[22:23], v[184:185], s[40:41] op_sel_hi:[1,0]
	v_pk_add_f32 v[134:135], v[36:37], v[26:27]
	v_pk_add_f32 v[136:137], v[26:27], v[36:37] neg_lo:[0,1] neg_hi:[0,1]
	v_accvgpr_write_b32 a1, v21
	v_mov_b32_e32 v21, v19
	v_accvgpr_write_b32 a4, v18
	v_pk_fma_f32 v[26:27], v[182:183], s[14:15], v[22:23] op_sel:[0,0,1] op_sel_hi:[1,0,0]
	v_pk_fma_f32 v[18:19], v[182:183], s[14:15], v[22:23] op_sel:[0,0,1] op_sel_hi:[1,0,0] neg_lo:[0,0,1] neg_hi:[0,0,1]
	v_pk_add_f32 v[180:181], v[28:29], v[42:43] neg_lo:[0,1] neg_hi:[0,1]
	v_pk_add_f32 v[24:25], v[64:65], v[20:21]
	v_accvgpr_write_b32 a3, v27
	v_mov_b32_e32 v27, v19
	s_mov_b32 s48, 0xbf65296c
	v_pk_add_f32 v[174:175], v[42:43], v[28:29]
	v_pk_add_f32 v[28:29], v[26:27], v[24:25]
	s_mov_b32 s12, 0x3ee437d1
	v_pk_mul_f32 v[26:27], v[180:181], s[48:49] op_sel_hi:[1,0]
	v_pk_add_f32 v[166:167], v[56:57], v[30:31]
	v_pk_add_f32 v[172:173], v[30:31], v[56:57] neg_lo:[0,1] neg_hi:[0,1]
	v_accvgpr_write_b32 a6, v18
	v_pk_fma_f32 v[30:31], v[174:175], s[12:13], v[26:27] op_sel:[0,0,1] op_sel_hi:[1,0,0]
	v_pk_fma_f32 v[18:19], v[174:175], s[12:13], v[26:27] op_sel:[0,0,1] op_sel_hi:[1,0,0] neg_lo:[0,0,1] neg_hi:[0,0,1]
	v_accvgpr_write_b32 a5, v31
	v_mov_b32_e32 v31, v19
	s_mov_b32 s38, 0xbf7ee86f
	v_pk_add_f32 v[158:159], v[58:59], v[32:33]
	v_pk_add_f32 v[164:165], v[32:33], v[58:59] neg_lo:[0,1] neg_hi:[0,1]
	v_pk_add_f32 v[32:33], v[30:31], v[28:29]
	s_mov_b32 s10, 0x3dbcf732
	v_pk_mul_f32 v[30:31], v[172:173], s[38:39] op_sel_hi:[1,0]
	v_pk_add_f32 v[150:151], v[60:61], v[34:35]
	v_pk_add_f32 v[152:153], v[34:35], v[60:61] neg_lo:[0,1] neg_hi:[0,1]
	v_accvgpr_write_b32 a8, v18
	v_pk_fma_f32 v[34:35], v[166:167], s[10:11], v[30:31] op_sel:[0,0,1] op_sel_hi:[1,0,0]
	v_pk_fma_f32 v[18:19], v[166:167], s[10:11], v[30:31] op_sel:[0,0,1] op_sel_hi:[1,0,0] neg_lo:[0,0,1] neg_hi:[0,0,1]
	v_accvgpr_write_b32 a7, v35
	v_mov_b32_e32 v35, v19
	s_mov_b32 s20, 0xbf763a35
	v_pk_add_f32 v[36:37], v[34:35], v[32:33]
	s_mov_b32 s18, 0xbe8c1d8e
	v_pk_mul_f32 v[34:35], v[164:165], s[20:21] op_sel_hi:[1,0]
	v_accvgpr_write_b32 a10, v18
	v_pk_fma_f32 v[38:39], v[158:159], s[18:19], v[34:35] op_sel:[0,0,1] op_sel_hi:[1,0,0]
	v_pk_fma_f32 v[18:19], v[158:159], s[18:19], v[34:35] op_sel:[0,0,1] op_sel_hi:[1,0,0] neg_lo:[0,0,1] neg_hi:[0,0,1]
	v_accvgpr_write_b32 a9, v39
	v_mov_b32_e32 v39, v19
	s_mov_b32 s24, 0xbf4c4adb
	v_pk_add_f32 v[56:57], v[38:39], v[36:37]
	s_mov_b32 s22, 0xbf1a4643
	v_pk_mul_f32 v[38:39], v[152:153], s[24:25] op_sel_hi:[1,0]
	;; [unrolled: 9-line block ×4, first 2 shown]
	v_accvgpr_write_b32 a16, v18
	v_pk_fma_f32 v[98:99], v[134:135], s[34:35], v[62:63] op_sel:[0,0,1] op_sel_hi:[1,0,0]
	v_pk_fma_f32 v[18:19], v[134:135], s[34:35], v[62:63] op_sel:[0,0,1] op_sel_hi:[1,0,0] neg_lo:[0,0,1] neg_hi:[0,0,1]
	v_accvgpr_write_b32 a15, v99
	v_mov_b32_e32 v99, v19
	v_pk_add_f32 v[96:97], v[98:99], v[96:97]
	ds_write2_b64 v94, v[16:17], v[96:97] offset1:1
	v_pk_mul_f32 v[96:97], v[188:189], s[40:41] op_sel_hi:[1,0]
	v_pk_mul_f32 v[100:101], v[184:185], s[38:39] op_sel_hi:[1,0]
	v_pk_fma_f32 v[98:99], v[186:187], s[14:15], v[96:97] op_sel:[0,0,1] op_sel_hi:[1,0,0]
	v_pk_fma_f32 v[16:17], v[186:187], s[14:15], v[96:97] op_sel:[0,0,1] op_sel_hi:[1,0,0] neg_lo:[0,0,1] neg_hi:[0,0,1]
	v_accvgpr_write_b32 a17, v99
	v_mov_b32_e32 v99, v17
	v_accvgpr_write_b32 a20, v16
	v_pk_fma_f32 v[104:105], v[182:183], s[10:11], v[100:101] op_sel:[0,0,1] op_sel_hi:[1,0,0]
	v_pk_fma_f32 v[16:17], v[182:183], s[10:11], v[100:101] op_sel:[0,0,1] op_sel_hi:[1,0,0] neg_lo:[0,0,1] neg_hi:[0,0,1]
	v_pk_add_f32 v[102:103], v[64:65], v[98:99]
	v_accvgpr_write_b32 a19, v105
	v_mov_b32_e32 v105, v17
	v_pk_add_f32 v[106:107], v[104:105], v[102:103]
	v_pk_mul_f32 v[104:105], v[180:181], s[24:25] op_sel_hi:[1,0]
	v_accvgpr_write_b32 a22, v16
	v_pk_fma_f32 v[108:109], v[174:175], s[22:23], v[104:105] op_sel:[0,0,1] op_sel_hi:[1,0,0]
	v_pk_fma_f32 v[16:17], v[174:175], s[22:23], v[104:105] op_sel:[0,0,1] op_sel_hi:[1,0,0] neg_lo:[0,0,1] neg_hi:[0,0,1]
	v_accvgpr_write_b32 a21, v109
	v_mov_b32_e32 v109, v17
	v_pk_add_f32 v[110:111], v[108:109], v[106:107]
	v_pk_mul_f32 v[108:109], v[172:173], s[36:37] op_sel_hi:[1,0]
	v_accvgpr_write_b32 a24, v16
	v_pk_fma_f32 v[112:113], v[166:167], s[34:35], v[108:109] op_sel:[0,0,1] op_sel_hi:[1,0,0]
	v_pk_fma_f32 v[16:17], v[166:167], s[34:35], v[108:109] op_sel:[0,0,1] op_sel_hi:[1,0,0] neg_lo:[0,0,1] neg_hi:[0,0,1]
	v_accvgpr_write_b32 a23, v113
	v_mov_b32_e32 v113, v17
	s_mov_b32 s52, 0x3f06c442
	v_pk_add_f32 v[114:115], v[112:113], v[110:111]
	v_pk_mul_f32 v[112:113], v[164:165], s[52:53] op_sel_hi:[1,0]
	s_mov_b32 s50, 0x3f763a35
	v_pk_fma_f32 v[116:117], v[158:159], s[28:29], v[112:113] op_sel:[0,0,1] op_sel_hi:[1,0,0]
	v_pk_fma_f32 v[112:113], v[158:159], s[28:29], v[112:113] op_sel:[0,0,1] op_sel_hi:[1,0,0] neg_lo:[0,0,1] neg_hi:[0,0,1]
	v_accvgpr_write_b32 a25, v117
	v_mov_b32_e32 v117, v113
	v_pk_add_f32 v[118:119], v[116:117], v[114:115]
	v_pk_mul_f32 v[116:117], v[152:153], s[50:51] op_sel_hi:[1,0]
	s_mov_b32 s42, 0x3f65296c
	v_pk_fma_f32 v[120:121], v[150:151], s[18:19], v[116:117] op_sel:[0,0,1] op_sel_hi:[1,0,0]
	v_pk_fma_f32 v[116:117], v[150:151], s[18:19], v[116:117] op_sel:[0,0,1] op_sel_hi:[1,0,0] neg_lo:[0,0,1] neg_hi:[0,0,1]
	v_accvgpr_write_b32 a27, v121
	v_mov_b32_e32 v121, v117
	;; [unrolled: 7-line block ×3, first 2 shown]
	v_accvgpr_write_b32 a18, v18
	v_mov_b32_e32 v18, v126
	v_mov_b32_e32 v113, v127
	v_pk_add_f32 v[126:127], v[124:125], v[122:123]
	v_pk_mul_f32 v[124:125], v[136:137], s[44:45] op_sel_hi:[1,0]
	v_accvgpr_write_b32 a26, v16
	v_pk_fma_f32 v[16:17], v[134:135], s[16:17], v[124:125] op_sel:[0,0,1] op_sel_hi:[1,0,0]
	v_pk_fma_f32 v[124:125], v[134:135], s[16:17], v[124:125] op_sel:[0,0,1] op_sel_hi:[1,0,0] neg_lo:[0,0,1] neg_hi:[0,0,1]
	v_mov_b32_e32 v117, v128
	v_mov_b32_e32 v128, v16
	;; [unrolled: 1-line block ×4, first 2 shown]
	v_pk_add_f32 v[190:191], v[128:129], v[126:127]
	v_pk_mul_f32 v[128:129], v[188:189], s[48:49] op_sel_hi:[1,0]
	v_accvgpr_write_b32 a31, v17
	v_pk_fma_f32 v[16:17], v[186:187], s[12:13], v[128:129] op_sel:[0,0,1] op_sel_hi:[1,0,0]
	v_pk_fma_f32 v[128:129], v[186:187], s[12:13], v[128:129] op_sel:[0,0,1] op_sel_hi:[1,0,0] neg_lo:[0,0,1] neg_hi:[0,0,1]
	v_pk_mul_f32 v[132:133], v[184:185], s[24:25] op_sel_hi:[1,0]
	v_mov_b32_e32 v19, v130
	v_mov_b32_e32 v130, v16
	;; [unrolled: 1-line block ×4, first 2 shown]
	v_pk_fma_f32 v[140:141], v[182:183], s[22:23], v[132:133] op_sel:[0,0,1] op_sel_hi:[1,0,0]
	v_pk_fma_f32 v[132:133], v[182:183], s[22:23], v[132:133] op_sel:[0,0,1] op_sel_hi:[1,0,0] neg_lo:[0,0,1] neg_hi:[0,0,1]
	v_pk_add_f32 v[138:139], v[64:65], v[130:131]
	v_accvgpr_write_b32 a35, v141
	v_mov_b32_e32 v141, v133
	s_mov_b32 s46, 0x3e3c28d5
	v_pk_add_f32 v[144:145], v[140:141], v[138:139]
	v_pk_mul_f32 v[140:141], v[180:181], s[46:47] op_sel_hi:[1,0]
	s_mov_b32 s46, 0x3f2c7751
	v_pk_fma_f32 v[146:147], v[174:175], s[34:35], v[140:141] op_sel:[0,0,1] op_sel_hi:[1,0,0]
	v_pk_fma_f32 v[140:141], v[174:175], s[34:35], v[140:141] op_sel:[0,0,1] op_sel_hi:[1,0,0] neg_lo:[0,0,1] neg_hi:[0,0,1]
	v_accvgpr_write_b32 a37, v147
	v_mov_b32_e32 v147, v141
	v_pk_add_f32 v[154:155], v[146:147], v[144:145]
	v_pk_mul_f32 v[146:147], v[172:173], s[50:51] op_sel_hi:[1,0]
	v_pk_mul_f32 v[196:197], v[184:185], s[36:37] op_sel_hi:[1,0]
	v_pk_fma_f32 v[156:157], v[166:167], s[18:19], v[146:147] op_sel:[0,0,1] op_sel_hi:[1,0,0]
	v_pk_fma_f32 v[146:147], v[166:167], s[18:19], v[146:147] op_sel:[0,0,1] op_sel_hi:[1,0,0] neg_lo:[0,0,1] neg_hi:[0,0,1]
	v_accvgpr_write_b32 a39, v157
	v_mov_b32_e32 v157, v147
	v_pk_add_f32 v[160:161], v[156:157], v[154:155]
	v_pk_mul_f32 v[156:157], v[164:165], s[46:47] op_sel_hi:[1,0]
	v_pk_mul_f32 v[20:21], v[188:189], s[20:21] op_sel_hi:[1,0]
	v_pk_fma_f32 v[162:163], v[158:159], s[14:15], v[156:157] op_sel:[0,0,1] op_sel_hi:[1,0,0]
	v_pk_fma_f32 v[156:157], v[158:159], s[14:15], v[156:157] op_sel:[0,0,1] op_sel_hi:[1,0,0] neg_lo:[0,0,1] neg_hi:[0,0,1]
	v_accvgpr_write_b32 a41, v163
	v_mov_b32_e32 v163, v157
	v_pk_add_f32 v[168:169], v[162:163], v[160:161]
	v_pk_mul_f32 v[162:163], v[152:153], s[26:27] op_sel_hi:[1,0]
	v_pk_mul_f32 v[228:229], v[184:185], s[52:53] op_sel_hi:[1,0]
	v_pk_fma_f32 v[160:161], v[150:151], s[16:17], v[162:163] op_sel:[0,0,1] op_sel_hi:[1,0,0]
	v_pk_fma_f32 v[162:163], v[150:151], s[16:17], v[162:163] op_sel:[0,0,1] op_sel_hi:[1,0,0] neg_lo:[0,0,1] neg_hi:[0,0,1]
	v_mov_b32_e32 v170, v160
	v_mov_b32_e32 v171, v163
	v_pk_add_f32 v[176:177], v[170:171], v[168:169]
	v_pk_mul_f32 v[170:171], v[148:149], s[38:39] op_sel_hi:[1,0]
	v_pk_fma_f32 v[154:155], v[182:183], s[28:29], v[228:229] op_sel:[0,0,1] op_sel_hi:[1,0,0]
	v_pk_fma_f32 v[168:169], v[142:143], s[10:11], v[170:171] op_sel:[0,0,1] op_sel_hi:[1,0,0]
	v_pk_fma_f32 v[170:171], v[142:143], s[10:11], v[170:171] op_sel:[0,0,1] op_sel_hi:[1,0,0] neg_lo:[0,0,1] neg_hi:[0,0,1]
	v_mov_b32_e32 v178, v168
	v_mov_b32_e32 v179, v171
	v_pk_add_f32 v[192:193], v[178:179], v[176:177]
	v_pk_mul_f32 v[178:179], v[136:137], s[30:31] op_sel_hi:[1,0]
	v_pk_fma_f32 v[228:229], v[182:183], s[28:29], v[228:229] op_sel:[0,0,1] op_sel_hi:[1,0,0] neg_lo:[0,0,1] neg_hi:[0,0,1]
	v_pk_fma_f32 v[176:177], v[134:135], s[28:29], v[178:179] op_sel:[0,0,1] op_sel_hi:[1,0,0]
	v_pk_fma_f32 v[178:179], v[134:135], s[28:29], v[178:179] op_sel:[0,0,1] op_sel_hi:[1,0,0] neg_lo:[0,0,1] neg_hi:[0,0,1]
	v_mov_b32_e32 v194, v176
	v_mov_b32_e32 v195, v179
	v_pk_add_f32 v[192:193], v[194:195], v[192:193]
	ds_write2_b64 v94, v[190:191], v[192:193] offset0:2 offset1:3
	v_pk_mul_f32 v[192:193], v[188:189], s[38:39] op_sel_hi:[1,0]
	v_mov_b32_e32 v232, v154
	v_pk_fma_f32 v[190:191], v[186:187], s[10:11], v[192:193] op_sel:[0,0,1] op_sel_hi:[1,0,0]
	v_pk_fma_f32 v[192:193], v[186:187], s[10:11], v[192:193] op_sel:[0,0,1] op_sel_hi:[1,0,0] neg_lo:[0,0,1] neg_hi:[0,0,1]
	v_mov_b32_e32 v194, v190
	v_mov_b32_e32 v195, v193
	v_pk_add_f32 v[198:199], v[64:65], v[194:195]
	v_pk_fma_f32 v[194:195], v[182:183], s[34:35], v[196:197] op_sel:[0,0,1] op_sel_hi:[1,0,0]
	v_pk_fma_f32 v[196:197], v[182:183], s[34:35], v[196:197] op_sel:[0,0,1] op_sel_hi:[1,0,0] neg_lo:[0,0,1] neg_hi:[0,0,1]
	v_mov_b32_e32 v200, v194
	v_mov_b32_e32 v201, v197
	v_pk_add_f32 v[202:203], v[200:201], v[198:199]
	v_pk_mul_f32 v[200:201], v[180:181], s[50:51] op_sel_hi:[1,0]
	v_mov_b32_e32 v233, v229
	v_pk_fma_f32 v[198:199], v[174:175], s[18:19], v[200:201] op_sel:[0,0,1] op_sel_hi:[1,0,0]
	v_pk_fma_f32 v[200:201], v[174:175], s[18:19], v[200:201] op_sel:[0,0,1] op_sel_hi:[1,0,0] neg_lo:[0,0,1] neg_hi:[0,0,1]
	v_mov_b32_e32 v204, v198
	v_mov_b32_e32 v205, v201
	v_pk_add_f32 v[206:207], v[204:205], v[202:203]
	v_pk_mul_f32 v[204:205], v[172:173], s[44:45] op_sel_hi:[1,0]
	v_mov_b32_e32 v154, v226
	v_pk_fma_f32 v[202:203], v[166:167], s[16:17], v[204:205] op_sel:[0,0,1] op_sel_hi:[1,0,0]
	v_pk_fma_f32 v[204:205], v[166:167], s[16:17], v[204:205] op_sel:[0,0,1] op_sel_hi:[1,0,0] neg_lo:[0,0,1] neg_hi:[0,0,1]
	v_mov_b32_e32 v208, v202
	v_mov_b32_e32 v209, v205
	v_pk_add_f32 v[210:211], v[208:209], v[206:207]
	v_pk_mul_f32 v[208:209], v[164:165], s[48:49] op_sel_hi:[1,0]
	v_accvgpr_write_b32 a33, v17
	v_pk_fma_f32 v[206:207], v[158:159], s[12:13], v[208:209] op_sel:[0,0,1] op_sel_hi:[1,0,0]
	v_pk_fma_f32 v[208:209], v[158:159], s[12:13], v[208:209] op_sel:[0,0,1] op_sel_hi:[1,0,0] neg_lo:[0,0,1] neg_hi:[0,0,1]
	v_mov_b32_e32 v212, v206
	v_mov_b32_e32 v213, v209
	v_pk_add_f32 v[214:215], v[212:213], v[210:211]
	v_pk_mul_f32 v[212:213], v[152:153], s[30:31] op_sel_hi:[1,0]
	v_pk_mul_f32 v[16:17], v[184:185], s[50:51] op_sel_hi:[1,0]
	v_pk_fma_f32 v[210:211], v[150:151], s[28:29], v[212:213] op_sel:[0,0,1] op_sel_hi:[1,0,0]
	v_pk_fma_f32 v[212:213], v[150:151], s[28:29], v[212:213] op_sel:[0,0,1] op_sel_hi:[1,0,0] neg_lo:[0,0,1] neg_hi:[0,0,1]
	v_mov_b32_e32 v216, v210
	v_mov_b32_e32 v217, v213
	v_pk_add_f32 v[218:219], v[216:217], v[214:215]
	v_pk_mul_f32 v[216:217], v[148:149], s[54:55] op_sel_hi:[1,0]
	v_pk_fma_f32 v[138:139], v[182:183], s[18:19], v[16:17] op_sel:[0,0,1] op_sel_hi:[1,0,0]
	v_pk_fma_f32 v[214:215], v[142:143], s[22:23], v[216:217] op_sel:[0,0,1] op_sel_hi:[1,0,0]
	v_pk_fma_f32 v[216:217], v[142:143], s[22:23], v[216:217] op_sel:[0,0,1] op_sel_hi:[1,0,0] neg_lo:[0,0,1] neg_hi:[0,0,1]
	v_mov_b32_e32 v220, v214
	v_mov_b32_e32 v221, v217
	v_pk_add_f32 v[222:223], v[220:221], v[218:219]
	v_pk_mul_f32 v[220:221], v[136:137], s[46:47] op_sel_hi:[1,0]
	v_pk_fma_f32 v[16:17], v[182:183], s[18:19], v[16:17] op_sel:[0,0,1] op_sel_hi:[1,0,0] neg_lo:[0,0,1] neg_hi:[0,0,1]
	v_pk_fma_f32 v[218:219], v[134:135], s[14:15], v[220:221] op_sel:[0,0,1] op_sel_hi:[1,0,0]
	v_pk_fma_f32 v[220:221], v[134:135], s[14:15], v[220:221] op_sel:[0,0,1] op_sel_hi:[1,0,0] neg_lo:[0,0,1] neg_hi:[0,0,1]
	v_mov_b32_e32 v224, v218
	v_mov_b32_e32 v225, v221
	v_pk_add_f32 v[42:43], v[224:225], v[222:223]
	v_pk_fma_f32 v[222:223], v[186:187], s[18:19], v[20:21] op_sel:[0,0,1] op_sel_hi:[1,0,0]
	v_pk_fma_f32 v[224:225], v[186:187], s[18:19], v[20:21] op_sel:[0,0,1] op_sel_hi:[1,0,0] neg_lo:[0,0,1] neg_hi:[0,0,1]
	v_mov_b32_e32 v20, v222
	v_mov_b32_e32 v21, v225
	v_pk_add_f32 v[230:231], v[64:65], v[20:21]
	v_mov_b32_e32 v20, v138
	v_pk_add_f32 v[234:235], v[232:233], v[230:231]
	v_pk_mul_f32 v[232:233], v[180:181], s[46:47] op_sel_hi:[1,0]
	v_mov_b32_e32 v21, v17
	v_pk_fma_f32 v[230:231], v[174:175], s[14:15], v[232:233] op_sel:[0,0,1] op_sel_hi:[1,0,0]
	v_pk_fma_f32 v[232:233], v[174:175], s[14:15], v[232:233] op_sel:[0,0,1] op_sel_hi:[1,0,0] neg_lo:[0,0,1] neg_hi:[0,0,1]
	v_mov_b32_e32 v236, v230
	v_mov_b32_e32 v237, v233
	v_pk_add_f32 v[238:239], v[236:237], v[234:235]
	v_pk_mul_f32 v[236:237], v[172:173], s[48:49] op_sel_hi:[1,0]
	s_mov_b32 s48, 0x3f7ee86f
	v_pk_fma_f32 v[234:235], v[166:167], s[12:13], v[236:237] op_sel:[0,0,1] op_sel_hi:[1,0,0]
	v_pk_fma_f32 v[236:237], v[166:167], s[12:13], v[236:237] op_sel:[0,0,1] op_sel_hi:[1,0,0] neg_lo:[0,0,1] neg_hi:[0,0,1]
	v_mov_b32_e32 v240, v234
	v_mov_b32_e32 v241, v237
	v_pk_add_f32 v[242:243], v[240:241], v[238:239]
	v_pk_mul_f32 v[240:241], v[164:165], s[36:37] op_sel_hi:[1,0]
	v_pk_mul_f32 v[40:41], v[184:185], s[42:43] op_sel_hi:[1,0]
	v_pk_fma_f32 v[238:239], v[158:159], s[34:35], v[240:241] op_sel:[0,0,1] op_sel_hi:[1,0,0]
	v_pk_fma_f32 v[240:241], v[158:159], s[34:35], v[240:241] op_sel:[0,0,1] op_sel_hi:[1,0,0] neg_lo:[0,0,1] neg_hi:[0,0,1]
	v_mov_b32_e32 v244, v238
	v_mov_b32_e32 v245, v241
	v_pk_add_f32 v[246:247], v[244:245], v[242:243]
	v_pk_mul_f32 v[244:245], v[152:153], s[48:49] op_sel_hi:[1,0]
	v_pk_fma_f32 v[106:107], v[182:183], s[12:13], v[40:41] op_sel:[0,0,1] op_sel_hi:[1,0,0]
	v_pk_fma_f32 v[242:243], v[150:151], s[10:11], v[244:245] op_sel:[0,0,1] op_sel_hi:[1,0,0]
	v_pk_fma_f32 v[244:245], v[150:151], s[10:11], v[244:245] op_sel:[0,0,1] op_sel_hi:[1,0,0] neg_lo:[0,0,1] neg_hi:[0,0,1]
	v_mov_b32_e32 v248, v242
	v_mov_b32_e32 v249, v245
	v_pk_add_f32 v[250:251], v[248:249], v[246:247]
	v_pk_mul_f32 v[248:249], v[148:149], s[26:27] op_sel_hi:[1,0]
	v_pk_fma_f32 v[40:41], v[182:183], s[12:13], v[40:41] op_sel:[0,0,1] op_sel_hi:[1,0,0] neg_lo:[0,0,1] neg_hi:[0,0,1]
	v_pk_fma_f32 v[246:247], v[142:143], s[16:17], v[248:249] op_sel:[0,0,1] op_sel_hi:[1,0,0]
	v_pk_fma_f32 v[248:249], v[142:143], s[16:17], v[248:249] op_sel:[0,0,1] op_sel_hi:[1,0,0] neg_lo:[0,0,1] neg_hi:[0,0,1]
	v_mov_b32_e32 v252, v246
	v_mov_b32_e32 v253, v249
	v_pk_add_f32 v[226:227], v[252:253], v[250:251]
	v_pk_mul_f32 v[252:253], v[136:137], s[24:25] op_sel_hi:[1,0]
	v_mov_b32_e32 v22, v106
	v_pk_fma_f32 v[144:145], v[134:135], s[22:23], v[252:253] op_sel:[0,0,1] op_sel_hi:[1,0,0]
	v_pk_fma_f32 v[252:253], v[134:135], s[22:23], v[252:253] op_sel:[0,0,1] op_sel_hi:[1,0,0] neg_lo:[0,0,1] neg_hi:[0,0,1]
	v_mov_b32_e32 v250, v144
	v_mov_b32_e32 v251, v253
	v_pk_add_f32 v[226:227], v[250:251], v[226:227]
	ds_write2_b64 v94, v[42:43], v[226:227] offset0:4 offset1:5
	v_pk_mul_f32 v[42:43], v[188:189], s[24:25] op_sel_hi:[1,0]
	v_mov_b32_e32 v23, v41
	v_pk_fma_f32 v[226:227], v[186:187], s[22:23], v[42:43] op_sel:[0,0,1] op_sel_hi:[1,0,0]
	v_pk_fma_f32 v[42:43], v[186:187], s[22:23], v[42:43] op_sel:[0,0,1] op_sel_hi:[1,0,0] neg_lo:[0,0,1] neg_hi:[0,0,1]
	v_mov_b32_e32 v250, v226
	v_mov_b32_e32 v251, v43
	v_pk_add_f32 v[250:251], v[64:65], v[250:251]
	v_mov_b32_e32 v129, v94
	v_pk_add_f32 v[20:21], v[20:21], v[250:251]
	v_pk_mul_f32 v[250:251], v[180:181], s[26:27] op_sel_hi:[1,0]
	v_mov_b32_e32 v43, v227
	v_pk_fma_f32 v[130:131], v[174:175], s[16:17], v[250:251] op_sel:[0,0,1] op_sel_hi:[1,0,0]
	v_pk_fma_f32 v[250:251], v[174:175], s[16:17], v[250:251] op_sel:[0,0,1] op_sel_hi:[1,0,0] neg_lo:[0,0,1] neg_hi:[0,0,1]
	v_mov_b32_e32 v24, v130
	v_mov_b32_e32 v25, v251
	v_pk_add_f32 v[20:21], v[24:25], v[20:21]
	v_pk_mul_f32 v[24:25], v[172:173], s[30:31] op_sel_hi:[1,0]
	v_mov_b32_e32 v130, v19
	v_pk_fma_f32 v[126:127], v[166:167], s[28:29], v[24:25] op_sel:[0,0,1] op_sel_hi:[1,0,0]
	v_pk_fma_f32 v[24:25], v[166:167], s[28:29], v[24:25] op_sel:[0,0,1] op_sel_hi:[1,0,0] neg_lo:[0,0,1] neg_hi:[0,0,1]
	v_mov_b32_e32 v28, v126
	;; [unrolled: 7-line block ×7, first 2 shown]
	v_mov_b32_e32 v19, v61
	v_pk_add_f32 v[18:19], v[64:65], v[18:19]
	v_mov_b32_e32 v61, v109
	v_pk_add_f32 v[18:19], v[22:23], v[18:19]
	v_pk_mul_f32 v[22:23], v[180:181], s[38:39] op_sel_hi:[1,0]
	v_pk_mul_f32 v[180:181], v[180:181], s[30:31] op_sel_hi:[1,0]
	v_pk_fma_f32 v[104:105], v[174:175], s[10:11], v[22:23] op_sel:[0,0,1] op_sel_hi:[1,0,0]
	v_pk_fma_f32 v[22:23], v[174:175], s[10:11], v[22:23] op_sel:[0,0,1] op_sel_hi:[1,0,0] neg_lo:[0,0,1] neg_hi:[0,0,1]
	v_mov_b32_e32 v26, v104
	v_mov_b32_e32 v27, v23
	v_pk_add_f32 v[18:19], v[26:27], v[18:19]
	v_pk_mul_f32 v[26:27], v[172:173], s[54:55] op_sel_hi:[1,0]
	v_pk_mul_f32 v[172:173], v[172:173], s[46:47] op_sel_hi:[1,0]
	v_pk_fma_f32 v[102:103], v[166:167], s[22:23], v[26:27] op_sel:[0,0,1] op_sel_hi:[1,0,0]
	v_pk_fma_f32 v[26:27], v[166:167], s[22:23], v[26:27] op_sel:[0,0,1] op_sel_hi:[1,0,0] neg_lo:[0,0,1] neg_hi:[0,0,1]
	v_mov_b32_e32 v30, v102
	;; [unrolled: 7-line block ×6, first 2 shown]
	v_mov_b32_e32 v63, v59
	v_pk_add_f32 v[18:19], v[62:63], v[18:19]
	ds_write2_b64 v129, v[20:21], v[18:19] offset0:6 offset1:7
	v_pk_mul_f32 v[18:19], v[188:189], s[36:37] op_sel_hi:[1,0]
	v_pk_mul_f32 v[62:63], v[184:185], s[44:45] op_sel_hi:[1,0]
	v_pk_fma_f32 v[20:21], v[186:187], s[34:35], v[18:19] op_sel:[0,0,1] op_sel_hi:[1,0,0]
	v_pk_fma_f32 v[18:19], v[186:187], s[34:35], v[18:19] op_sel:[0,0,1] op_sel_hi:[1,0,0] neg_lo:[0,0,1] neg_hi:[0,0,1]
	v_pk_fma_f32 v[184:185], v[182:183], s[16:17], v[62:63] op_sel:[0,0,1] op_sel_hi:[1,0,0]
	v_pk_fma_f32 v[62:63], v[182:183], s[16:17], v[62:63] op_sel:[0,0,1] op_sel_hi:[1,0,0] neg_lo:[0,0,1] neg_hi:[0,0,1]
	v_mov_b32_e32 v182, v20
	v_mov_b32_e32 v183, v19
	v_pk_add_f32 v[182:183], v[64:65], v[182:183]
	v_mov_b32_e32 v186, v184
	v_mov_b32_e32 v187, v63
	v_pk_add_f32 v[182:183], v[186:187], v[182:183]
	v_pk_fma_f32 v[186:187], v[174:175], s[28:29], v[180:181] op_sel:[0,0,1] op_sel_hi:[1,0,0]
	v_pk_fma_f32 v[174:175], v[174:175], s[28:29], v[180:181] op_sel:[0,0,1] op_sel_hi:[1,0,0] neg_lo:[0,0,1] neg_hi:[0,0,1]
	v_mov_b32_e32 v180, v186
	v_mov_b32_e32 v181, v175
	v_pk_add_f32 v[180:181], v[180:181], v[182:183]
	v_pk_fma_f32 v[182:183], v[166:167], s[14:15], v[172:173] op_sel:[0,0,1] op_sel_hi:[1,0,0]
	v_pk_fma_f32 v[166:167], v[166:167], s[14:15], v[172:173] op_sel:[0,0,1] op_sel_hi:[1,0,0] neg_lo:[0,0,1] neg_hi:[0,0,1]
	;; [unrolled: 5-line block ×3, first 2 shown]
	v_mov_b32_e32 v19, v21
	v_mov_b32_e32 v164, v180
	;; [unrolled: 1-line block ×4, first 2 shown]
	v_pk_add_f32 v[18:19], v[64:65], v[18:19]
	v_pk_add_f32 v[164:165], v[164:165], v[172:173]
	v_pk_fma_f32 v[172:173], v[150:151], s[12:13], v[152:153] op_sel:[0,0,1] op_sel_hi:[1,0,0]
	v_pk_fma_f32 v[150:151], v[150:151], s[12:13], v[152:153] op_sel:[0,0,1] op_sel_hi:[1,0,0] neg_lo:[0,0,1] neg_hi:[0,0,1]
	v_pk_add_f32 v[18:19], v[62:63], v[18:19]
	v_mov_b32_e32 v175, v187
	v_mov_b32_e32 v152, v172
	v_mov_b32_e32 v153, v151
	v_pk_add_f32 v[18:19], v[174:175], v[18:19]
	v_mov_b32_e32 v167, v183
	v_pk_add_f32 v[152:153], v[152:153], v[164:165]
	v_pk_fma_f32 v[164:165], v[142:143], s[18:19], v[148:149] op_sel:[0,0,1] op_sel_hi:[1,0,0]
	v_pk_fma_f32 v[142:143], v[142:143], s[18:19], v[148:149] op_sel:[0,0,1] op_sel_hi:[1,0,0] neg_lo:[0,0,1] neg_hi:[0,0,1]
	v_pk_add_f32 v[18:19], v[166:167], v[18:19]
	v_mov_b32_e32 v159, v181
	v_mov_b32_e32 v148, v164
	v_mov_b32_e32 v149, v143
	v_pk_add_f32 v[18:19], v[158:159], v[18:19]
	v_mov_b32_e32 v151, v173
	;; [unrolled: 9-line block ×3, first 2 shown]
	v_pk_add_f32 v[136:137], v[136:137], v[148:149]
	v_pk_add_f32 v[18:19], v[134:135], v[18:19]
	ds_write2_b64 v129, v[136:137], v[18:19] offset0:8 offset1:9
	v_pk_add_f32 v[18:19], v[64:65], v[60:61]
	v_pk_add_f32 v[20:21], v[64:65], v[42:43]
	v_pk_add_f32 v[18:19], v[40:41], v[18:19]
	v_mov_b32_e32 v23, v105
	v_pk_add_f32 v[16:17], v[16:17], v[20:21]
	v_pk_add_f32 v[18:19], v[22:23], v[18:19]
	v_mov_b32_e32 v27, v103
	v_pk_add_f32 v[16:17], v[250:251], v[16:17]
	v_pk_add_f32 v[18:19], v[26:27], v[18:19]
	v_mov_b32_e32 v31, v101
	v_pk_add_f32 v[16:17], v[24:25], v[16:17]
	v_mov_b32_e32 v29, v123
	v_pk_add_f32 v[18:19], v[30:31], v[18:19]
	v_mov_b32_e32 v35, v99
	v_pk_add_f32 v[16:17], v[28:29], v[16:17]
	v_mov_b32_e32 v33, v119
	v_pk_add_f32 v[18:19], v[34:35], v[18:19]
	v_mov_b32_e32 v39, v97
	v_pk_add_f32 v[16:17], v[32:33], v[16:17]
	v_mov_b32_e32 v37, v115
	v_pk_add_f32 v[18:19], v[38:39], v[18:19]
	v_mov_b32_e32 v59, v95
	v_pk_add_f32 v[16:17], v[36:37], v[16:17]
	v_mov_b32_e32 v57, v111
	v_pk_add_f32 v[18:19], v[58:59], v[18:19]
	v_pk_add_f32 v[16:17], v[56:57], v[16:17]
	v_mov_b32_e32 v225, v223
	v_mov_b32_e32 v193, v191
	ds_write2_b64 v129, v[18:19], v[16:17] offset0:10 offset1:11
	v_pk_add_f32 v[16:17], v[64:65], v[224:225]
	v_mov_b32_e32 v229, v155
	v_pk_add_f32 v[18:19], v[64:65], v[192:193]
	v_mov_b32_e32 v197, v195
	;; [unrolled: 2-line block ×14, first 2 shown]
	v_pk_add_f32 v[16:17], v[252:253], v[16:17]
	v_pk_add_f32 v[18:19], v[220:221], v[18:19]
	v_mov_b32_e32 v62, v129
	ds_write2_b64 v129, v[16:17], v[18:19] offset0:12 offset1:13
	v_accvgpr_read_b32 v129, a33
	v_accvgpr_read_b32 v18, a20
	;; [unrolled: 1-line block ×3, first 2 shown]
	v_pk_add_f32 v[16:17], v[64:65], v[128:129]
	v_accvgpr_read_b32 v133, a35
	v_pk_add_f32 v[18:19], v[64:65], v[18:19]
	v_accvgpr_read_b32 v20, a22
	v_accvgpr_read_b32 v21, a19
	v_pk_add_f32 v[16:17], v[132:133], v[16:17]
	v_accvgpr_read_b32 v141, a37
	v_pk_add_f32 v[18:19], v[20:21], v[18:19]
	v_accvgpr_read_b32 v20, a24
	v_accvgpr_read_b32 v21, a21
	;; [unrolled: 5-line block ×3, first 2 shown]
	v_mov_b32_e32 v127, v113
	v_pk_add_f32 v[16:17], v[146:147], v[16:17]
	v_accvgpr_read_b32 v157, a41
	v_pk_add_f32 v[18:19], v[20:21], v[18:19]
	v_accvgpr_read_b32 v113, a25
	v_mov_b32_e32 v128, v117
	v_pk_add_f32 v[16:17], v[156:157], v[16:17]
	v_mov_b32_e32 v163, v161
	v_pk_add_f32 v[18:19], v[112:113], v[18:19]
	v_accvgpr_read_b32 v117, a27
	v_mov_b32_e32 v129, v121
	v_pk_add_f32 v[16:17], v[162:163], v[16:17]
	v_mov_b32_e32 v171, v169
	;; [unrolled: 5-line block ×3, first 2 shown]
	v_pk_add_f32 v[18:19], v[120:121], v[18:19]
	v_accvgpr_read_b32 v125, a31
	v_pk_add_f32 v[16:17], v[178:179], v[16:17]
	v_pk_add_f32 v[18:19], v[124:125], v[18:19]
	ds_write2_b64 v62, v[16:17], v[18:19] offset0:14 offset1:15
	v_accvgpr_read_b32 v16, a4
	v_accvgpr_read_b32 v17, a1
	v_pk_add_f32 v[16:17], v[64:65], v[16:17]
	v_accvgpr_read_b32 v18, a6
	v_accvgpr_read_b32 v19, a3
	v_pk_add_f32 v[16:17], v[18:19], v[16:17]
	;; [unrolled: 3-line block ×7, first 2 shown]
	v_accvgpr_read_b32 v18, a18
	v_accvgpr_read_b32 v19, a15
	v_mov_b32_e32 v226, v154
	v_pk_add_f32 v[16:17], v[18:19], v[16:17]
	ds_write_b64 v62, v[16:17] offset:128
.LBB0_13:
	s_or_b64 exec, exec, s[0:1]
	v_add_u32_e32 v40, 0x800, v254
	s_waitcnt lgkmcnt(0)
	s_barrier
	ds_read2_b64 v[16:19], v40 offset0:16 offset1:50
	ds_read2_b64 v[20:23], v254 offset0:136 offset1:170
	s_mov_b32 s0, 0x3e9e377a
	s_mov_b32 s1, 0x3f167918
	;; [unrolled: 1-line block ×3, first 2 shown]
	s_waitcnt lgkmcnt(1)
	v_pk_mul_f32 v[24:25], v[52:53], v[18:19]
	v_pk_mul_f32 v[32:33], v[50:51], v[16:17]
	v_pk_fma_f32 v[26:27], v[92:93], v[18:19], v[24:25] op_sel:[0,0,1] op_sel_hi:[1,1,0]
	v_pk_fma_f32 v[18:19], v[92:93], v[18:19], v[24:25] op_sel:[0,0,1] op_sel_hi:[1,1,0] neg_lo:[0,0,1] neg_hi:[0,0,1]
	v_pk_fma_f32 v[34:35], v[90:91], v[16:17], v[32:33] op_sel:[0,0,1] op_sel_hi:[1,1,0]
	v_mov_b32_e32 v27, v19
	s_waitcnt lgkmcnt(0)
	v_pk_add_f32 v[28:29], v[20:21], v[26:27] neg_lo:[0,1] neg_hi:[0,1]
	ds_read2_b64 v[24:27], v254 offset0:204 offset1:238
	v_pk_fma_f32 v[30:31], v[20:21], 2.0, v[28:29] op_sel_hi:[1,0,1] neg_lo:[0,0,1] neg_hi:[0,0,1]
	ds_read2_b64 v[18:21], v254 offset0:68 offset1:102
	v_pk_fma_f32 v[16:17], v[90:91], v[16:17], v[32:33] op_sel:[0,0,1] op_sel_hi:[1,1,0] neg_lo:[0,0,1] neg_hi:[0,0,1]
	s_mov_b32 s14, 0x3f4f1bbd
	v_mov_b32_e32 v35, v17
	s_waitcnt lgkmcnt(1)
	v_pk_mul_f32 v[16:17], v[48:49], v[26:27]
	s_waitcnt lgkmcnt(0)
	v_pk_add_f32 v[32:33], v[20:21], v[34:35] neg_lo:[0,1] neg_hi:[0,1]
	v_pk_fma_f32 v[34:35], v[88:89], v[26:27], v[16:17] op_sel:[0,0,1] op_sel_hi:[1,1,0]
	v_pk_fma_f32 v[16:17], v[88:89], v[26:27], v[16:17] op_sel:[0,0,1] op_sel_hi:[1,1,0] neg_lo:[0,0,1] neg_hi:[0,0,1]
	v_pk_mul_f32 v[36:37], v[46:47], v[24:25]
	v_mov_b32_e32 v35, v17
	v_pk_add_f32 v[26:27], v[18:19], v[34:35] neg_lo:[0,1] neg_hi:[0,1]
	v_pk_fma_f32 v[38:39], v[86:87], v[24:25], v[36:37] op_sel:[0,0,1] op_sel_hi:[1,1,0]
	v_pk_fma_f32 v[34:35], v[18:19], 2.0, v[26:27] op_sel_hi:[1,0,1] neg_lo:[0,0,1] neg_hi:[0,0,1]
	ds_read2_b64 v[16:19], v254 offset1:34
	v_pk_fma_f32 v[24:25], v[86:87], v[24:25], v[36:37] op_sel:[0,0,1] op_sel_hi:[1,1,0] neg_lo:[0,0,1] neg_hi:[0,0,1]
	v_pk_mul_f32 v[36:37], v[44:45], v[22:23]
	v_mov_b32_e32 v39, v25
	v_pk_fma_f32 v[20:21], v[20:21], 2.0, v[32:33] op_sel_hi:[1,0,1] neg_lo:[0,0,1] neg_hi:[0,0,1]
	s_waitcnt lgkmcnt(0)
	v_pk_add_f32 v[24:25], v[18:19], v[38:39] neg_lo:[0,1] neg_hi:[0,1]
	v_pk_fma_f32 v[38:39], v[84:85], v[22:23], v[36:37] op_sel:[0,0,1] op_sel_hi:[1,1,0]
	v_pk_fma_f32 v[22:23], v[84:85], v[22:23], v[36:37] op_sel:[0,0,1] op_sel_hi:[1,1,0] neg_lo:[0,0,1] neg_hi:[0,0,1]
	v_pk_fma_f32 v[18:19], v[18:19], 2.0, v[24:25] op_sel_hi:[1,0,1] neg_lo:[0,0,1] neg_hi:[0,0,1]
	v_mov_b32_e32 v39, v23
	v_pk_add_f32 v[22:23], v[16:17], v[38:39] neg_lo:[0,1] neg_hi:[0,1]
	s_nop 0
	v_pk_fma_f32 v[16:17], v[16:17], 2.0, v[22:23] op_sel_hi:[1,0,1] neg_lo:[0,0,1] neg_hi:[0,0,1]
	s_barrier
	ds_write2_b64 v126, v[16:17], v[22:23] offset1:17
	ds_write2_b64 v130, v[18:19], v[24:25] offset1:17
	;; [unrolled: 1-line block ×5, first 2 shown]
	s_waitcnt lgkmcnt(0)
	s_barrier
	ds_read2_b64 v[16:19], v254 offset1:34
	ds_read2_b64 v[20:23], v254 offset0:68 offset1:102
	ds_read2_b64 v[24:27], v254 offset0:136 offset1:170
	;; [unrolled: 1-line block ×4, first 2 shown]
	s_waitcnt lgkmcnt(4)
	v_pk_mul_f32 v[12:13], v[12:13], v[18:19]
	s_waitcnt lgkmcnt(3)
	v_pk_mul_f32 v[14:15], v[14:15], v[20:21]
	;; [unrolled: 2-line block ×3, first 2 shown]
	v_pk_fma_f32 v[36:37], v[82:83], v[18:19], v[12:13] op_sel:[0,0,1] op_sel_hi:[1,1,0]
	s_waitcnt lgkmcnt(0)
	v_pk_mul_f32 v[2:3], v[2:3], v[32:33]
	v_pk_fma_f32 v[12:13], v[82:83], v[18:19], v[12:13] op_sel:[0,0,1] op_sel_hi:[1,1,0] neg_lo:[0,0,1] neg_hi:[0,0,1]
	v_pk_fma_f32 v[18:19], v[80:81], v[20:21], v[14:15] op_sel:[0,0,1] op_sel_hi:[1,1,0]
	v_pk_fma_f32 v[14:15], v[80:81], v[20:21], v[14:15] op_sel:[0,0,1] op_sel_hi:[1,1,0] neg_lo:[0,0,1] neg_hi:[0,0,1]
	v_pk_mul_f32 v[8:9], v[8:9], v[22:23]
	v_pk_fma_f32 v[20:21], v[76:77], v[24:25], v[10:11] op_sel:[0,0,1] op_sel_hi:[1,1,0]
	v_pk_fma_f32 v[10:11], v[76:77], v[24:25], v[10:11] op_sel:[0,0,1] op_sel_hi:[1,1,0] neg_lo:[0,0,1] neg_hi:[0,0,1]
	v_pk_mul_f32 v[6:7], v[6:7], v[28:29]
	v_pk_fma_f32 v[24:25], v[68:69], v[32:33], v[2:3] op_sel:[0,0,1] op_sel_hi:[1,1,0]
	v_pk_fma_f32 v[2:3], v[68:69], v[32:33], v[2:3] op_sel:[0,0,1] op_sel_hi:[1,1,0] neg_lo:[0,0,1] neg_hi:[0,0,1]
	v_mov_b32_e32 v19, v15
	v_pk_fma_f32 v[14:15], v[78:79], v[22:23], v[8:9] op_sel:[0,0,1] op_sel_hi:[1,1,0]
	v_pk_fma_f32 v[8:9], v[78:79], v[22:23], v[8:9] op_sel:[0,0,1] op_sel_hi:[1,1,0] neg_lo:[0,0,1] neg_hi:[0,0,1]
	v_pk_mul_f32 v[4:5], v[4:5], v[26:27]
	v_pk_fma_f32 v[22:23], v[72:73], v[28:29], v[6:7] op_sel:[0,0,1] op_sel_hi:[1,1,0]
	v_pk_fma_f32 v[6:7], v[72:73], v[28:29], v[6:7] op_sel:[0,0,1] op_sel_hi:[1,1,0] neg_lo:[0,0,1] neg_hi:[0,0,1]
	v_pk_mul_f32 v[0:1], v[0:1], v[30:31]
	v_mov_b32_e32 v25, v3
	v_pk_mul_f32 v[2:3], v[54:55], v[34:35]
	v_mov_b32_e32 v21, v11
	v_pk_fma_f32 v[10:11], v[74:75], v[26:27], v[4:5] op_sel:[0,0,1] op_sel_hi:[1,1,0]
	v_pk_fma_f32 v[4:5], v[74:75], v[26:27], v[4:5] op_sel:[0,0,1] op_sel_hi:[1,1,0] neg_lo:[0,0,1] neg_hi:[0,0,1]
	v_mov_b32_e32 v23, v7
	v_pk_fma_f32 v[6:7], v[70:71], v[30:31], v[0:1] op_sel:[0,0,1] op_sel_hi:[1,1,0]
	v_pk_fma_f32 v[26:27], v[66:67], v[34:35], v[2:3] op_sel:[0,0,1] op_sel_hi:[1,1,0]
	v_mov_b32_e32 v38, v14
	v_mov_b32_e32 v39, v26
	v_mov_b32_e32 v40, v10
	v_mov_b32_e32 v41, v6
	v_pk_fma_f32 v[0:1], v[70:71], v[30:31], v[0:1] op_sel:[0,0,1] op_sel_hi:[1,1,0] neg_lo:[0,0,1] neg_hi:[0,0,1]
	v_pk_add_f32 v[42:43], v[38:39], v[40:41] neg_lo:[0,1] neg_hi:[0,1]
	v_mov_b32_e32 v11, v5
	v_mov_b32_e32 v7, v1
	v_pk_fma_f32 v[2:3], v[66:67], v[34:35], v[2:3] op_sel:[0,0,1] op_sel_hi:[1,1,0] neg_lo:[0,0,1] neg_hi:[0,0,1]
	v_mov_b32_e32 v0, v43
	v_mov_b32_e32 v15, v9
	;; [unrolled: 1-line block ×3, first 2 shown]
	v_pk_add_f32 v[30:31], v[10:11], v[6:7]
	v_pk_add_f32 v[34:35], v[10:11], v[6:7] neg_lo:[0,1] neg_hi:[0,1]
	v_pk_add_f32 v[42:43], v[42:43], v[0:1]
	v_fma_f32 v2, -0.5, v30, v36
	v_pk_add_f32 v[32:33], v[14:15], v[26:27] neg_lo:[0,1] neg_hi:[0,1]
	v_mov_b32_e32 v43, v35
	v_fmamk_f32 v4, v33, 0xbf737871, v2
	v_pk_mul_f32 v[42:43], v[42:43], s[0:1]
	v_fmac_f32_e32 v2, 0x3f737871, v33
	v_sub_f32_e32 v0, v4, v43
	v_add_f32_e32 v4, v42, v0
	v_add_f32_e32 v0, v43, v2
	v_pk_add_f32 v[38:39], v[40:41], v[38:39] neg_lo:[0,1] neg_hi:[0,1]
	v_add_f32_e32 v8, v42, v0
	v_mov_b32_e32 v0, v39
	v_pk_add_f32 v[42:43], v[14:15], v[26:27]
	v_mov_b32_e32 v2, v36
	v_pk_add_f32 v[38:39], v[38:39], v[0:1]
	v_fmac_f32_e32 v2, -0.5, v42
	v_mov_b32_e32 v39, v33
	v_fmamk_f32 v12, v35, 0x3f737871, v2
	v_pk_mul_f32 v[38:39], v[38:39], s[0:1]
	v_mov_b32_e32 v37, v13
	v_sub_f32_e32 v0, v12, v39
	v_fmac_f32_e32 v2, 0xbf737871, v35
	v_add_f32_e32 v12, v38, v0
	v_add_f32_e32 v0, v39, v2
	v_pk_add_f32 v[14:15], v[36:37], v[14:15]
	v_add_f32_e32 v30, v38, v0
	v_pk_add_f32 v[10:11], v[14:15], v[10:11]
	v_mov_b32_e32 v2, v9
	v_mov_b32_e32 v0, v5
	v_pk_add_f32 v[6:7], v[10:11], v[6:7]
	v_pk_add_f32 v[10:11], v[2:3], v[0:1] neg_lo:[0,1] neg_hi:[0,1]
	v_pk_add_f32 v[28:29], v[16:17], v[18:19]
	v_fma_f32 v15, -0.5, v31, v13
	v_mov_b32_e32 v14, v11
	v_pk_add_f32 v[28:29], v[28:29], v[20:21]
	v_pk_add_f32 v[10:11], v[10:11], v[14:15]
	;; [unrolled: 1-line block ×3, first 2 shown]
	v_mov_b32_e32 v11, v34
	v_pk_add_f32 v[0:1], v[0:1], v[2:3] neg_lo:[0,1] neg_hi:[0,1]
	v_pk_add_f32 v[28:29], v[28:29], v[24:25]
	v_pk_add_f32 v[6:7], v[6:7], v[26:27]
	v_fmamk_f32 v26, v32, 0x3f737871, v15
	v_pk_mul_f32 v[10:11], v[10:11], s[0:1]
	v_mov_b32_e32 v2, v1
	v_add_f32_e32 v5, v11, v26
	v_fmac_f32_e32 v15, 0xbf737871, v32
	v_pk_add_f32 v[0:1], v[0:1], v[2:3]
	v_pk_add_f32 v[26:27], v[28:29], v[6:7]
	v_add_f32_e32 v14, v10, v5
	v_sub_f32_e32 v5, v15, v11
	v_fmac_f32_e32 v13, -0.5, v43
	v_mov_b32_e32 v1, v32
	ds_write_b64 v131, v[26:27]
	v_pk_add_f32 v[26:27], v[20:21], v[22:23]
	v_pk_add_f32 v[32:33], v[18:19], v[24:25] neg_lo:[0,1] neg_hi:[0,1]
	v_add_f32_e32 v10, v10, v5
	v_fmamk_f32 v5, v34, 0xbf737871, v13
	v_pk_mul_f32 v[0:1], v[0:1], s[0:1]
	v_fmac_f32_e32 v13, 0x3f737871, v34
	v_pk_fma_f32 v[26:27], v[26:27], 0.5, v[16:17] op_sel_hi:[1,0,1] neg_lo:[1,0,0] neg_hi:[1,0,0]
	v_pk_mul_f32 v[34:35], v[32:33], s[10:11] op_sel_hi:[1,0]
	v_pk_add_f32 v[36:37], v[20:21], v[22:23] neg_lo:[0,1] neg_hi:[0,1]
	s_mov_b32 s12, s1
	v_pk_add_f32 v[40:41], v[18:19], v[20:21] neg_lo:[0,1] neg_hi:[0,1]
	v_pk_add_f32 v[42:43], v[24:25], v[22:23] neg_lo:[0,1] neg_hi:[0,1]
	s_mov_b32 s16, s1
	s_mov_b32 s17, s14
	v_add_f32_e32 v2, v1, v5
	v_pk_mul_f32 v[38:39], v[36:37], s[12:13] op_sel_hi:[1,0]
	v_pk_add_f32 v[40:41], v[40:41], v[42:43]
	v_pk_add_f32 v[42:43], v[26:27], v[34:35] op_sel:[0,1] op_sel_hi:[1,0] neg_lo:[0,1] neg_hi:[0,1]
	s_mov_b32 s15, s1
	v_pk_mul_f32 v[14:15], v[14:15], s[16:17] op_sel_hi:[0,1]
	v_add_f32_e32 v2, v0, v2
	v_pk_add_f32 v[26:27], v[26:27], v[34:35] op_sel:[0,1] op_sel_hi:[1,0]
	v_pk_add_f32 v[34:35], v[42:43], v[38:39] op_sel:[0,1] op_sel_hi:[1,0] neg_lo:[0,1] neg_hi:[0,1]
	v_pk_fma_f32 v[42:43], v[4:5], s[14:15], v[14:15] neg_lo:[0,0,1] neg_hi:[0,0,1]
	v_pk_fma_f32 v[4:5], v[4:5], s[14:15], v[14:15] op_sel_hi:[0,1,1]
	v_pk_add_f32 v[14:15], v[18:19], v[24:25]
	s_mov_b32 s11, s0
	v_pk_fma_f32 v[14:15], v[14:15], 0.5, v[16:17] op_sel_hi:[1,0,1] neg_lo:[1,0,0] neg_hi:[1,0,0]
	v_pk_add_f32 v[16:17], v[20:21], v[18:19] neg_lo:[0,1] neg_hi:[0,1]
	v_pk_add_f32 v[18:19], v[22:23], v[24:25] neg_lo:[0,1] neg_hi:[0,1]
	s_mov_b32 s14, s0
	s_mov_b32 s15, s10
	v_pk_mul_f32 v[2:3], v[2:3], s[10:11] op_sel_hi:[0,1]
	v_pk_add_f32 v[16:17], v[16:17], v[18:19]
	v_pk_fma_f32 v[18:19], v[12:13], s[14:15], v[2:3] neg_lo:[0,0,1] neg_hi:[0,0,1]
	v_pk_fma_f32 v[2:3], v[12:13], s[14:15], v[2:3] op_sel_hi:[0,1,1]
	v_mov_b32_e32 v19, v3
	v_pk_mul_f32 v[2:3], v[36:37], s[10:11] op_sel_hi:[1,0]
	v_sub_f32_e32 v1, v13, v1
	v_pk_mul_f32 v[12:13], v[32:33], s[12:13] op_sel_hi:[1,0]
	v_pk_add_f32 v[20:21], v[14:15], v[2:3] op_sel:[0,1] op_sel_hi:[1,0]
	v_pk_add_f32 v[2:3], v[14:15], v[2:3] op_sel:[0,1] op_sel_hi:[1,0] neg_lo:[0,1] neg_hi:[0,1]
	v_pk_add_f32 v[26:27], v[26:27], v[38:39] op_sel:[0,1] op_sel_hi:[1,0]
	v_pk_add_f32 v[2:3], v[2:3], v[12:13] op_sel:[0,1] op_sel_hi:[1,0]
	v_pk_add_f32 v[12:13], v[20:21], v[12:13] op_sel:[0,1] op_sel_hi:[1,0] neg_lo:[0,1] neg_hi:[0,1]
	v_add_f32_e32 v0, v0, v1
	v_mov_b32_e32 v38, v34
	v_mov_b32_e32 v39, v27
	v_mov_b32_e32 v14, v12
	v_mov_b32_e32 v15, v3
	v_pk_fma_f32 v[38:39], v[40:41], s[0:1], v[38:39] op_sel_hi:[1,0,1]
	v_mov_b32_e32 v43, v5
	v_pk_fma_f32 v[14:15], v[16:17], s[0:1], v[14:15] op_sel_hi:[1,0,1]
	s_mov_b32 s12, 0xbe9e377a
	s_mov_b32 s13, s10
	v_pk_mul_f32 v[0:1], v[0:1], s[10:11] op_sel_hi:[0,1]
	v_mov_b32_e32 v3, v13
	s_mov_b32 s10, 0xbf4f1bbd
	s_mov_b32 s11, s1
	v_pk_mul_f32 v[10:11], v[10:11], s[16:17] op_sel_hi:[0,1]
	v_mov_b32_e32 v27, v35
	v_pk_add_f32 v[4:5], v[38:39], v[42:43]
	v_pk_add_f32 v[20:21], v[14:15], v[18:19]
	v_pk_fma_f32 v[0:1], v[30:31], s[12:13], v[0:1] op_sel_hi:[0,1,1] neg_lo:[0,0,1] neg_hi:[0,0,1]
	v_pk_fma_f32 v[2:3], v[16:17], s[0:1], v[2:3] op_sel_hi:[1,0,1]
	v_pk_fma_f32 v[8:9], v[8:9], s[10:11], v[10:11] op_sel_hi:[0,1,1] neg_lo:[0,0,1] neg_hi:[0,0,1]
	v_pk_fma_f32 v[10:11], v[40:41], s[0:1], v[26:27] op_sel_hi:[1,0,1]
	ds_write2_b64 v255, v[4:5], v[20:21] offset0:34 offset1:68
	v_pk_add_f32 v[4:5], v[2:3], v[0:1]
	v_pk_add_f32 v[12:13], v[10:11], v[8:9]
	ds_write2_b64 v255, v[4:5], v[12:13] offset0:102 offset1:136
	v_pk_add_f32 v[4:5], v[28:29], v[6:7] neg_lo:[0,1] neg_hi:[0,1]
	v_pk_add_f32 v[6:7], v[38:39], v[42:43] neg_lo:[0,1] neg_hi:[0,1]
	ds_write2_b64 v255, v[4:5], v[6:7] offset0:170 offset1:204
	v_pk_add_f32 v[4:5], v[14:15], v[18:19] neg_lo:[0,1] neg_hi:[0,1]
	v_pk_add_f32 v[0:1], v[2:3], v[0:1] neg_lo:[0,1] neg_hi:[0,1]
	v_add_u32_e32 v2, 0x400, v255
	ds_write2_b64 v2, v[4:5], v[0:1] offset0:110 offset1:144
	v_pk_add_f32 v[0:1], v[10:11], v[8:9] neg_lo:[0,1] neg_hi:[0,1]
	s_and_b64 s[0:1], exec, vcc
	v_accvgpr_read_b32 v16, a2
	ds_write_b64 v255, v[0:1] offset:2448
	s_waitcnt lgkmcnt(0)
	s_barrier
	s_mov_b64 exec, s[0:1]
	s_cbranch_execz .LBB0_15
; %bb.14:
	v_accvgpr_read_b32 v14, a0
	global_load_dwordx2 v[2:3], v14, s[2:3]
	ds_read_b64 v[6:7], v131
	v_mad_u64_u32 v[4:5], s[0:1], s6, v16, 0
	v_mov_b32_e32 v10, v5
	v_mad_u64_u32 v[10:11], s[6:7], s7, v16, v[10:11]
	v_mov_b32_e32 v0, s8
	v_mov_b32_e32 v1, s9
	;; [unrolled: 1-line block ×3, first 2 shown]
	v_mad_u64_u32 v[8:9], s[8:9], s4, v226, 0
	v_lshl_add_u64 v[0:1], v[4:5], 3, v[0:1]
	s_mov_b32 s0, 0x18181818
	v_mov_b32_e32 v12, v9
	s_mov_b32 s1, 0x3f681818
	v_mad_u64_u32 v[12:13], s[6:7], s5, v226, v[12:13]
	v_mov_b32_e32 v9, v12
	v_lshl_add_u64 v[8:9], v[8:9], 3, v[0:1]
	v_mov_b32_e32 v12, 0xa0
	s_mul_i32 s6, s5, 0xa0
	v_or_b32_e32 v11, 0xa0, v226
	s_mul_i32 s7, s5, 0x140
	s_waitcnt vmcnt(0) lgkmcnt(0)
	v_mul_f32_e32 v4, v7, v3
	v_mul_f32_e32 v3, v6, v3
	v_fmac_f32_e32 v4, v6, v2
	v_fma_f32 v5, v2, v7, -v3
	v_cvt_f64_f32_e32 v[2:3], v4
	v_cvt_f64_f32_e32 v[4:5], v5
	v_mul_f64 v[2:3], v[2:3], s[0:1]
	v_mul_f64 v[4:5], v[4:5], s[0:1]
	v_cvt_f32_f64_e32 v2, v[2:3]
	v_cvt_f32_f64_e32 v3, v[4:5]
	global_store_dwordx2 v[8:9], v[2:3], off
	global_load_dwordx2 v[6:7], v14, s[2:3] offset:160
	ds_read2_b64 v[2:5], v255 offset0:20 offset1:40
	v_mad_u64_u32 v[8:9], s[8:9], s4, v12, v[8:9]
	v_add_u32_e32 v9, s6, v9
	s_waitcnt vmcnt(0) lgkmcnt(0)
	v_mul_f32_e32 v10, v3, v7
	v_mul_f32_e32 v7, v2, v7
	v_fmac_f32_e32 v10, v2, v6
	v_fma_f32 v6, v6, v3, -v7
	v_cvt_f64_f32_e32 v[2:3], v10
	v_cvt_f64_f32_e32 v[6:7], v6
	v_mul_f64 v[2:3], v[2:3], s[0:1]
	v_mul_f64 v[6:7], v[6:7], s[0:1]
	v_cvt_f32_f64_e32 v2, v[2:3]
	v_cvt_f32_f64_e32 v3, v[6:7]
	global_store_dwordx2 v[8:9], v[2:3], off
	global_load_dwordx2 v[2:3], v14, s[2:3] offset:320
	v_mad_u64_u32 v[6:7], s[8:9], s4, v12, v[8:9]
	v_add_u32_e32 v7, s6, v7
	s_waitcnt vmcnt(0)
	v_mul_f32_e32 v8, v5, v3
	v_mul_f32_e32 v3, v4, v3
	v_fmac_f32_e32 v8, v4, v2
	v_fma_f32 v4, v2, v5, -v3
	v_cvt_f64_f32_e32 v[2:3], v8
	v_cvt_f64_f32_e32 v[4:5], v4
	v_mul_f64 v[2:3], v[2:3], s[0:1]
	v_mul_f64 v[4:5], v[4:5], s[0:1]
	v_cvt_f32_f64_e32 v2, v[2:3]
	v_cvt_f32_f64_e32 v3, v[4:5]
	global_store_dwordx2 v[6:7], v[2:3], off
	global_load_dwordx2 v[8:9], v14, s[2:3] offset:480
	ds_read2_b64 v[2:5], v255 offset0:60 offset1:80
	v_mad_u64_u32 v[6:7], s[8:9], s4, v12, v[6:7]
	v_add_u32_e32 v7, s6, v7
	s_waitcnt vmcnt(0) lgkmcnt(0)
	v_mul_f32_e32 v10, v3, v9
	v_mul_f32_e32 v9, v2, v9
	v_fmac_f32_e32 v10, v2, v8
	v_fma_f32 v8, v8, v3, -v9
	v_cvt_f64_f32_e32 v[2:3], v10
	v_cvt_f64_f32_e32 v[8:9], v8
	v_mul_f64 v[2:3], v[2:3], s[0:1]
	v_mul_f64 v[8:9], v[8:9], s[0:1]
	v_cvt_f32_f64_e32 v2, v[2:3]
	v_cvt_f32_f64_e32 v3, v[8:9]
	global_store_dwordx2 v[6:7], v[2:3], off
	global_load_dwordx2 v[2:3], v14, s[2:3] offset:640
	v_mad_u64_u32 v[6:7], s[8:9], s4, v12, v[6:7]
	v_add_u32_e32 v7, s6, v7
	s_waitcnt vmcnt(0)
	;; [unrolled: 31-line block ×3, first 2 shown]
	v_mul_f32_e32 v8, v5, v3
	v_mul_f32_e32 v3, v4, v3
	v_fmac_f32_e32 v8, v4, v2
	v_fma_f32 v4, v2, v5, -v3
	v_cvt_f64_f32_e32 v[2:3], v8
	v_cvt_f64_f32_e32 v[4:5], v4
	v_mul_f64 v[2:3], v[2:3], s[0:1]
	v_mul_f64 v[4:5], v[4:5], s[0:1]
	v_cvt_f32_f64_e32 v2, v[2:3]
	v_cvt_f32_f64_e32 v3, v[4:5]
	global_store_dwordx2 v[6:7], v[2:3], off
	global_load_dwordx2 v[8:9], v14, s[2:3] offset:1120
	ds_read2_b64 v[2:5], v255 offset0:140 offset1:160
	v_mad_u64_u32 v[6:7], s[8:9], s4, v12, v[6:7]
	v_add_u32_e32 v7, s6, v7
	s_waitcnt vmcnt(0) lgkmcnt(0)
	v_mul_f32_e32 v10, v3, v9
	v_mul_f32_e32 v9, v2, v9
	v_fmac_f32_e32 v10, v2, v8
	v_fma_f32 v8, v8, v3, -v9
	v_cvt_f64_f32_e32 v[2:3], v10
	v_cvt_f64_f32_e32 v[8:9], v8
	v_mul_f64 v[2:3], v[2:3], s[0:1]
	v_mul_f64 v[8:9], v[8:9], s[0:1]
	v_cvt_f32_f64_e32 v2, v[2:3]
	v_cvt_f32_f64_e32 v3, v[8:9]
	global_store_dwordx2 v[6:7], v[2:3], off
	global_load_dwordx2 v[2:3], v14, s[2:3] offset:1280
	v_mad_u64_u32 v[8:9], s[8:9], s4, v11, 0
	v_mov_b32_e32 v10, v9
	v_mad_u64_u32 v[10:11], s[8:9], s5, v11, v[10:11]
	v_mov_b32_e32 v9, v10
	v_lshl_add_u64 v[8:9], v[8:9], 3, v[0:1]
	s_waitcnt vmcnt(0)
	v_mul_f32_e32 v10, v5, v3
	v_mul_f32_e32 v3, v4, v3
	v_fmac_f32_e32 v10, v4, v2
	v_fma_f32 v4, v2, v5, -v3
	v_cvt_f64_f32_e32 v[2:3], v10
	v_cvt_f64_f32_e32 v[4:5], v4
	v_mul_f64 v[2:3], v[2:3], s[0:1]
	v_mul_f64 v[4:5], v[4:5], s[0:1]
	v_cvt_f32_f64_e32 v2, v[2:3]
	v_cvt_f32_f64_e32 v3, v[4:5]
	global_store_dwordx2 v[8:9], v[2:3], off
	global_load_dwordx2 v[8:9], v14, s[2:3] offset:1440
	ds_read2_b64 v[2:5], v255 offset0:180 offset1:200
	v_mov_b32_e32 v10, 0x140
	v_mad_u64_u32 v[6:7], s[8:9], s4, v10, v[6:7]
	v_add_u32_e32 v7, s7, v7
	s_waitcnt vmcnt(0) lgkmcnt(0)
	v_mul_f32_e32 v10, v3, v9
	v_mul_f32_e32 v9, v2, v9
	v_fmac_f32_e32 v10, v2, v8
	v_fma_f32 v8, v8, v3, -v9
	v_cvt_f64_f32_e32 v[2:3], v10
	v_cvt_f64_f32_e32 v[8:9], v8
	v_mul_f64 v[2:3], v[2:3], s[0:1]
	v_mul_f64 v[8:9], v[8:9], s[0:1]
	v_cvt_f32_f64_e32 v2, v[2:3]
	v_cvt_f32_f64_e32 v3, v[8:9]
	global_store_dwordx2 v[6:7], v[2:3], off
	global_load_dwordx2 v[2:3], v14, s[2:3] offset:1600
	v_mad_u64_u32 v[6:7], s[8:9], s4, v12, v[6:7]
	v_add_u32_e32 v7, s6, v7
	s_waitcnt vmcnt(0)
	v_mul_f32_e32 v8, v5, v3
	v_mul_f32_e32 v3, v4, v3
	v_fmac_f32_e32 v8, v4, v2
	v_fma_f32 v4, v2, v5, -v3
	v_cvt_f64_f32_e32 v[2:3], v8
	v_cvt_f64_f32_e32 v[4:5], v4
	v_mul_f64 v[2:3], v[2:3], s[0:1]
	v_mul_f64 v[4:5], v[4:5], s[0:1]
	v_cvt_f32_f64_e32 v2, v[2:3]
	v_cvt_f32_f64_e32 v3, v[4:5]
	global_store_dwordx2 v[6:7], v[2:3], off
	global_load_dwordx2 v[8:9], v14, s[2:3] offset:1760
	ds_read2_b64 v[2:5], v255 offset0:220 offset1:240
	v_mad_u64_u32 v[6:7], s[8:9], s4, v12, v[6:7]
	v_add_u32_e32 v7, s6, v7
	s_waitcnt vmcnt(0) lgkmcnt(0)
	v_mul_f32_e32 v10, v3, v9
	v_mul_f32_e32 v9, v2, v9
	v_fmac_f32_e32 v10, v2, v8
	v_fma_f32 v8, v8, v3, -v9
	v_cvt_f64_f32_e32 v[2:3], v10
	v_cvt_f64_f32_e32 v[8:9], v8
	v_mul_f64 v[2:3], v[2:3], s[0:1]
	v_mul_f64 v[8:9], v[8:9], s[0:1]
	v_cvt_f32_f64_e32 v2, v[2:3]
	v_cvt_f32_f64_e32 v3, v[8:9]
	global_store_dwordx2 v[6:7], v[2:3], off
	global_load_dwordx2 v[2:3], v14, s[2:3] offset:1920
	v_mad_u64_u32 v[6:7], s[8:9], s4, v12, v[6:7]
	v_add_u32_e32 v7, s6, v7
	v_add_u32_e32 v10, 0x800, v255
	s_waitcnt vmcnt(0)
	v_mul_f32_e32 v8, v5, v3
	v_mul_f32_e32 v3, v4, v3
	v_fmac_f32_e32 v8, v4, v2
	v_fma_f32 v4, v2, v5, -v3
	v_cvt_f64_f32_e32 v[2:3], v8
	v_cvt_f64_f32_e32 v[4:5], v4
	v_mul_f64 v[2:3], v[2:3], s[0:1]
	v_mul_f64 v[4:5], v[4:5], s[0:1]
	v_cvt_f32_f64_e32 v2, v[2:3]
	v_cvt_f32_f64_e32 v3, v[4:5]
	global_store_dwordx2 v[6:7], v[2:3], off
	global_load_dwordx2 v[8:9], v14, s[2:3] offset:2080
	ds_read2_b64 v[2:5], v10 offset0:4 offset1:24
	v_mad_u64_u32 v[6:7], s[8:9], s4, v12, v[6:7]
	v_add_u32_e32 v7, s6, v7
	s_waitcnt vmcnt(0) lgkmcnt(0)
	v_mul_f32_e32 v11, v3, v9
	v_mul_f32_e32 v9, v2, v9
	v_fmac_f32_e32 v11, v2, v8
	v_fma_f32 v8, v8, v3, -v9
	v_cvt_f64_f32_e32 v[2:3], v11
	v_cvt_f64_f32_e32 v[8:9], v8
	v_mul_f64 v[2:3], v[2:3], s[0:1]
	v_mul_f64 v[8:9], v[8:9], s[0:1]
	v_cvt_f32_f64_e32 v2, v[2:3]
	v_cvt_f32_f64_e32 v3, v[8:9]
	global_store_dwordx2 v[6:7], v[2:3], off
	global_load_dwordx2 v[2:3], v14, s[2:3] offset:2240
	v_mad_u64_u32 v[6:7], s[8:9], s4, v12, v[6:7]
	v_add_u32_e32 v7, s6, v7
	s_waitcnt vmcnt(0)
	v_mul_f32_e32 v8, v5, v3
	v_mul_f32_e32 v3, v4, v3
	v_fmac_f32_e32 v8, v4, v2
	v_fma_f32 v4, v2, v5, -v3
	v_cvt_f64_f32_e32 v[2:3], v8
	v_cvt_f64_f32_e32 v[4:5], v4
	v_mul_f64 v[2:3], v[2:3], s[0:1]
	v_mul_f64 v[4:5], v[4:5], s[0:1]
	v_cvt_f32_f64_e32 v2, v[2:3]
	v_cvt_f32_f64_e32 v3, v[4:5]
	global_store_dwordx2 v[6:7], v[2:3], off
	global_load_dwordx2 v[8:9], v14, s[2:3] offset:2400
	ds_read2_b64 v[2:5], v10 offset0:44 offset1:64
	v_mad_u64_u32 v[6:7], s[8:9], s4, v12, v[6:7]
	v_add_u32_e32 v7, s6, v7
	s_waitcnt vmcnt(0) lgkmcnt(0)
	v_mul_f32_e32 v10, v3, v9
	v_mul_f32_e32 v9, v2, v9
	v_fmac_f32_e32 v10, v2, v8
	v_fma_f32 v8, v8, v3, -v9
	v_cvt_f64_f32_e32 v[2:3], v10
	v_cvt_f64_f32_e32 v[8:9], v8
	v_mul_f64 v[2:3], v[2:3], s[0:1]
	v_mul_f64 v[8:9], v[8:9], s[0:1]
	v_cvt_f32_f64_e32 v2, v[2:3]
	v_cvt_f32_f64_e32 v3, v[8:9]
	global_store_dwordx2 v[6:7], v[2:3], off
	global_load_dwordx2 v[2:3], v14, s[2:3] offset:2560
	v_or_b32_e32 v9, 0x140, v226
	v_mad_u64_u32 v[6:7], s[2:3], s4, v9, 0
	v_mov_b32_e32 v8, v7
	v_mad_u64_u32 v[8:9], s[2:3], s5, v9, v[8:9]
	v_mov_b32_e32 v7, v8
	v_lshl_add_u64 v[0:1], v[6:7], 3, v[0:1]
	s_waitcnt vmcnt(0)
	v_mul_f32_e32 v8, v5, v3
	v_mul_f32_e32 v3, v4, v3
	v_fmac_f32_e32 v8, v4, v2
	v_fma_f32 v4, v2, v5, -v3
	v_cvt_f64_f32_e32 v[2:3], v8
	v_cvt_f64_f32_e32 v[4:5], v4
	v_mul_f64 v[2:3], v[2:3], s[0:1]
	v_mul_f64 v[4:5], v[4:5], s[0:1]
	v_cvt_f32_f64_e32 v2, v[2:3]
	v_cvt_f32_f64_e32 v3, v[4:5]
	global_store_dwordx2 v[0:1], v[2:3], off
.LBB0_15:
	s_endpgm
	.section	.rodata,"a",@progbits
	.p2align	6, 0x0
	.amdhsa_kernel bluestein_single_back_len340_dim1_sp_op_CI_CI
		.amdhsa_group_segment_fixed_size 8160
		.amdhsa_private_segment_fixed_size 0
		.amdhsa_kernarg_size 104
		.amdhsa_user_sgpr_count 2
		.amdhsa_user_sgpr_dispatch_ptr 0
		.amdhsa_user_sgpr_queue_ptr 0
		.amdhsa_user_sgpr_kernarg_segment_ptr 1
		.amdhsa_user_sgpr_dispatch_id 0
		.amdhsa_user_sgpr_kernarg_preload_length 0
		.amdhsa_user_sgpr_kernarg_preload_offset 0
		.amdhsa_user_sgpr_private_segment_size 0
		.amdhsa_uses_dynamic_stack 0
		.amdhsa_enable_private_segment 0
		.amdhsa_system_sgpr_workgroup_id_x 1
		.amdhsa_system_sgpr_workgroup_id_y 0
		.amdhsa_system_sgpr_workgroup_id_z 0
		.amdhsa_system_sgpr_workgroup_info 0
		.amdhsa_system_vgpr_workitem_id 0
		.amdhsa_next_free_vgpr 304
		.amdhsa_next_free_sgpr 58
		.amdhsa_accum_offset 256
		.amdhsa_reserve_vcc 1
		.amdhsa_float_round_mode_32 0
		.amdhsa_float_round_mode_16_64 0
		.amdhsa_float_denorm_mode_32 3
		.amdhsa_float_denorm_mode_16_64 3
		.amdhsa_dx10_clamp 1
		.amdhsa_ieee_mode 1
		.amdhsa_fp16_overflow 0
		.amdhsa_tg_split 0
		.amdhsa_exception_fp_ieee_invalid_op 0
		.amdhsa_exception_fp_denorm_src 0
		.amdhsa_exception_fp_ieee_div_zero 0
		.amdhsa_exception_fp_ieee_overflow 0
		.amdhsa_exception_fp_ieee_underflow 0
		.amdhsa_exception_fp_ieee_inexact 0
		.amdhsa_exception_int_div_zero 0
	.end_amdhsa_kernel
	.text
.Lfunc_end0:
	.size	bluestein_single_back_len340_dim1_sp_op_CI_CI, .Lfunc_end0-bluestein_single_back_len340_dim1_sp_op_CI_CI
                                        ; -- End function
	.section	.AMDGPU.csdata,"",@progbits
; Kernel info:
; codeLenInByte = 17020
; NumSgprs: 64
; NumVgprs: 256
; NumAgprs: 48
; TotalNumVgprs: 304
; ScratchSize: 0
; MemoryBound: 0
; FloatMode: 240
; IeeeMode: 1
; LDSByteSize: 8160 bytes/workgroup (compile time only)
; SGPRBlocks: 7
; VGPRBlocks: 37
; NumSGPRsForWavesPerEU: 64
; NumVGPRsForWavesPerEU: 304
; AccumOffset: 256
; Occupancy: 1
; WaveLimiterHint : 1
; COMPUTE_PGM_RSRC2:SCRATCH_EN: 0
; COMPUTE_PGM_RSRC2:USER_SGPR: 2
; COMPUTE_PGM_RSRC2:TRAP_HANDLER: 0
; COMPUTE_PGM_RSRC2:TGID_X_EN: 1
; COMPUTE_PGM_RSRC2:TGID_Y_EN: 0
; COMPUTE_PGM_RSRC2:TGID_Z_EN: 0
; COMPUTE_PGM_RSRC2:TIDIG_COMP_CNT: 0
; COMPUTE_PGM_RSRC3_GFX90A:ACCUM_OFFSET: 63
; COMPUTE_PGM_RSRC3_GFX90A:TG_SPLIT: 0
	.text
	.p2alignl 6, 3212836864
	.fill 256, 4, 3212836864
	.type	__hip_cuid_8522221428e32934,@object ; @__hip_cuid_8522221428e32934
	.section	.bss,"aw",@nobits
	.globl	__hip_cuid_8522221428e32934
__hip_cuid_8522221428e32934:
	.byte	0                               ; 0x0
	.size	__hip_cuid_8522221428e32934, 1

	.ident	"AMD clang version 19.0.0git (https://github.com/RadeonOpenCompute/llvm-project roc-6.4.0 25133 c7fe45cf4b819c5991fe208aaa96edf142730f1d)"
	.section	".note.GNU-stack","",@progbits
	.addrsig
	.addrsig_sym __hip_cuid_8522221428e32934
	.amdgpu_metadata
---
amdhsa.kernels:
  - .agpr_count:     48
    .args:
      - .actual_access:  read_only
        .address_space:  global
        .offset:         0
        .size:           8
        .value_kind:     global_buffer
      - .actual_access:  read_only
        .address_space:  global
        .offset:         8
        .size:           8
        .value_kind:     global_buffer
      - .actual_access:  read_only
        .address_space:  global
        .offset:         16
        .size:           8
        .value_kind:     global_buffer
      - .actual_access:  read_only
        .address_space:  global
        .offset:         24
        .size:           8
        .value_kind:     global_buffer
      - .actual_access:  read_only
        .address_space:  global
        .offset:         32
        .size:           8
        .value_kind:     global_buffer
      - .offset:         40
        .size:           8
        .value_kind:     by_value
      - .address_space:  global
        .offset:         48
        .size:           8
        .value_kind:     global_buffer
      - .address_space:  global
        .offset:         56
        .size:           8
        .value_kind:     global_buffer
      - .address_space:  global
        .offset:         64
        .size:           8
        .value_kind:     global_buffer
      - .address_space:  global
        .offset:         72
        .size:           8
        .value_kind:     global_buffer
      - .offset:         80
        .size:           4
        .value_kind:     by_value
      - .address_space:  global
        .offset:         88
        .size:           8
        .value_kind:     global_buffer
      - .address_space:  global
        .offset:         96
        .size:           8
        .value_kind:     global_buffer
    .group_segment_fixed_size: 8160
    .kernarg_segment_align: 8
    .kernarg_segment_size: 104
    .language:       OpenCL C
    .language_version:
      - 2
      - 0
    .max_flat_workgroup_size: 102
    .name:           bluestein_single_back_len340_dim1_sp_op_CI_CI
    .private_segment_fixed_size: 0
    .sgpr_count:     64
    .sgpr_spill_count: 0
    .symbol:         bluestein_single_back_len340_dim1_sp_op_CI_CI.kd
    .uniform_work_group_size: 1
    .uses_dynamic_stack: false
    .vgpr_count:     304
    .vgpr_spill_count: 0
    .wavefront_size: 64
amdhsa.target:   amdgcn-amd-amdhsa--gfx950
amdhsa.version:
  - 1
  - 2
...

	.end_amdgpu_metadata
